;; amdgpu-corpus repo=pytorch/pytorch kind=compiled arch=gfx942 opt=O3
	.text
	.amdgcn_target "amdgcn-amd-amdhsa--gfx942"
	.amdhsa_code_object_version 6
	.section	.text._ZN7rocprim17ROCPRIM_304000_NS6detail31init_lookback_scan_state_kernelINS1_19lookback_scan_stateIhLb1ELb1EEEEEvT_jjPNS5_10value_typeE,"axG",@progbits,_ZN7rocprim17ROCPRIM_304000_NS6detail31init_lookback_scan_state_kernelINS1_19lookback_scan_stateIhLb1ELb1EEEEEvT_jjPNS5_10value_typeE,comdat
	.protected	_ZN7rocprim17ROCPRIM_304000_NS6detail31init_lookback_scan_state_kernelINS1_19lookback_scan_stateIhLb1ELb1EEEEEvT_jjPNS5_10value_typeE ; -- Begin function _ZN7rocprim17ROCPRIM_304000_NS6detail31init_lookback_scan_state_kernelINS1_19lookback_scan_stateIhLb1ELb1EEEEEvT_jjPNS5_10value_typeE
	.globl	_ZN7rocprim17ROCPRIM_304000_NS6detail31init_lookback_scan_state_kernelINS1_19lookback_scan_stateIhLb1ELb1EEEEEvT_jjPNS5_10value_typeE
	.p2align	8
	.type	_ZN7rocprim17ROCPRIM_304000_NS6detail31init_lookback_scan_state_kernelINS1_19lookback_scan_stateIhLb1ELb1EEEEEvT_jjPNS5_10value_typeE,@function
_ZN7rocprim17ROCPRIM_304000_NS6detail31init_lookback_scan_state_kernelINS1_19lookback_scan_stateIhLb1ELb1EEEEEvT_jjPNS5_10value_typeE: ; @_ZN7rocprim17ROCPRIM_304000_NS6detail31init_lookback_scan_state_kernelINS1_19lookback_scan_stateIhLb1ELb1EEEEEvT_jjPNS5_10value_typeE
; %bb.0:
	s_load_dword s3, s[0:1], 0x24
	s_load_dwordx2 s[8:9], s[0:1], 0x10
	s_load_dwordx4 s[4:7], s[0:1], 0x0
	s_waitcnt lgkmcnt(0)
	s_and_b32 s0, s3, 0xffff
	s_mul_i32 s2, s2, s0
	s_cmp_eq_u64 s[8:9], 0
	v_add_u32_e32 v0, s2, v0
	s_cbranch_scc1 .LBB0_8
; %bb.1:
	s_cmp_lt_u32 s7, s6
	s_cselect_b32 s0, s7, 0
	s_mov_b32 s3, 0
	v_cmp_eq_u32_e32 vcc, s0, v0
	s_and_saveexec_b64 s[0:1], vcc
	s_cbranch_execz .LBB0_7
; %bb.2:
	s_add_i32 s2, s7, 64
	s_lshl_b64 s[2:3], s[2:3], 1
	s_add_u32 s2, s4, s2
	s_addc_u32 s3, s5, s3
	v_mov_b32_e32 v1, 0
	global_load_ushort v2, v1, s[2:3] sc1
	s_mov_b32 s7, 1
	s_movk_i32 s10, 0xff
	s_waitcnt vmcnt(0)
	v_cmp_lt_u16_e32 vcc, s10, v2
	s_cbranch_vccnz .LBB0_6
.LBB0_3:                                ; =>This Loop Header: Depth=1
                                        ;     Child Loop BB0_4 Depth 2
	s_max_u32 s11, s7, 1
.LBB0_4:                                ;   Parent Loop BB0_3 Depth=1
                                        ; =>  This Inner Loop Header: Depth=2
	s_add_i32 s11, s11, -1
	s_cmp_eq_u32 s11, 0
	s_sleep 1
	s_cbranch_scc0 .LBB0_4
; %bb.5:                                ;   in Loop: Header=BB0_3 Depth=1
	global_load_ushort v2, v1, s[2:3] sc1
	s_cmp_lt_u32 s7, 32
	s_cselect_b64 s[12:13], -1, 0
	s_cmp_lg_u64 s[12:13], 0
	s_addc_u32 s7, s7, 0
	s_waitcnt vmcnt(0)
	v_cmp_lt_u16_e32 vcc, s10, v2
	s_cbranch_vccz .LBB0_3
.LBB0_6:
	v_mov_b32_e32 v1, 0
	global_store_byte v1, v2, s[8:9]
.LBB0_7:
	s_or_b64 exec, exec, s[0:1]
.LBB0_8:
	v_cmp_gt_u32_e32 vcc, s6, v0
	s_and_saveexec_b64 s[0:1], vcc
	s_cbranch_execnz .LBB0_11
; %bb.9:
	s_or_b64 exec, exec, s[0:1]
	v_cmp_gt_u32_e32 vcc, 64, v0
	s_and_saveexec_b64 s[0:1], vcc
	s_cbranch_execnz .LBB0_12
.LBB0_10:
	s_endpgm
.LBB0_11:
	v_add_u32_e32 v2, 64, v0
	v_mov_b32_e32 v3, 0
	v_lshl_add_u64 v[4:5], v[2:3], 1, s[4:5]
	global_store_short v[4:5], v3, off
	s_or_b64 exec, exec, s[0:1]
	v_cmp_gt_u32_e32 vcc, 64, v0
	s_and_saveexec_b64 s[0:1], vcc
	s_cbranch_execz .LBB0_10
.LBB0_12:
	v_mov_b32_e32 v1, 0
	v_lshl_add_u64 v[0:1], v[0:1], 1, s[4:5]
	v_mov_b32_e32 v2, 0xffffff00
	global_store_short v[0:1], v2, off
	s_endpgm
	.section	.rodata,"a",@progbits
	.p2align	6, 0x0
	.amdhsa_kernel _ZN7rocprim17ROCPRIM_304000_NS6detail31init_lookback_scan_state_kernelINS1_19lookback_scan_stateIhLb1ELb1EEEEEvT_jjPNS5_10value_typeE
		.amdhsa_group_segment_fixed_size 0
		.amdhsa_private_segment_fixed_size 0
		.amdhsa_kernarg_size 280
		.amdhsa_user_sgpr_count 2
		.amdhsa_user_sgpr_dispatch_ptr 0
		.amdhsa_user_sgpr_queue_ptr 0
		.amdhsa_user_sgpr_kernarg_segment_ptr 1
		.amdhsa_user_sgpr_dispatch_id 0
		.amdhsa_user_sgpr_kernarg_preload_length 0
		.amdhsa_user_sgpr_kernarg_preload_offset 0
		.amdhsa_user_sgpr_private_segment_size 0
		.amdhsa_uses_dynamic_stack 0
		.amdhsa_enable_private_segment 0
		.amdhsa_system_sgpr_workgroup_id_x 1
		.amdhsa_system_sgpr_workgroup_id_y 0
		.amdhsa_system_sgpr_workgroup_id_z 0
		.amdhsa_system_sgpr_workgroup_info 0
		.amdhsa_system_vgpr_workitem_id 0
		.amdhsa_next_free_vgpr 6
		.amdhsa_next_free_sgpr 14
		.amdhsa_accum_offset 8
		.amdhsa_reserve_vcc 1
		.amdhsa_float_round_mode_32 0
		.amdhsa_float_round_mode_16_64 0
		.amdhsa_float_denorm_mode_32 3
		.amdhsa_float_denorm_mode_16_64 3
		.amdhsa_dx10_clamp 1
		.amdhsa_ieee_mode 1
		.amdhsa_fp16_overflow 0
		.amdhsa_tg_split 0
		.amdhsa_exception_fp_ieee_invalid_op 0
		.amdhsa_exception_fp_denorm_src 0
		.amdhsa_exception_fp_ieee_div_zero 0
		.amdhsa_exception_fp_ieee_overflow 0
		.amdhsa_exception_fp_ieee_underflow 0
		.amdhsa_exception_fp_ieee_inexact 0
		.amdhsa_exception_int_div_zero 0
	.end_amdhsa_kernel
	.section	.text._ZN7rocprim17ROCPRIM_304000_NS6detail31init_lookback_scan_state_kernelINS1_19lookback_scan_stateIhLb1ELb1EEEEEvT_jjPNS5_10value_typeE,"axG",@progbits,_ZN7rocprim17ROCPRIM_304000_NS6detail31init_lookback_scan_state_kernelINS1_19lookback_scan_stateIhLb1ELb1EEEEEvT_jjPNS5_10value_typeE,comdat
.Lfunc_end0:
	.size	_ZN7rocprim17ROCPRIM_304000_NS6detail31init_lookback_scan_state_kernelINS1_19lookback_scan_stateIhLb1ELb1EEEEEvT_jjPNS5_10value_typeE, .Lfunc_end0-_ZN7rocprim17ROCPRIM_304000_NS6detail31init_lookback_scan_state_kernelINS1_19lookback_scan_stateIhLb1ELb1EEEEEvT_jjPNS5_10value_typeE
                                        ; -- End function
	.section	.AMDGPU.csdata,"",@progbits
; Kernel info:
; codeLenInByte = 300
; NumSgprs: 20
; NumVgprs: 6
; NumAgprs: 0
; TotalNumVgprs: 6
; ScratchSize: 0
; MemoryBound: 0
; FloatMode: 240
; IeeeMode: 1
; LDSByteSize: 0 bytes/workgroup (compile time only)
; SGPRBlocks: 2
; VGPRBlocks: 0
; NumSGPRsForWavesPerEU: 20
; NumVGPRsForWavesPerEU: 6
; AccumOffset: 8
; Occupancy: 8
; WaveLimiterHint : 0
; COMPUTE_PGM_RSRC2:SCRATCH_EN: 0
; COMPUTE_PGM_RSRC2:USER_SGPR: 2
; COMPUTE_PGM_RSRC2:TRAP_HANDLER: 0
; COMPUTE_PGM_RSRC2:TGID_X_EN: 1
; COMPUTE_PGM_RSRC2:TGID_Y_EN: 0
; COMPUTE_PGM_RSRC2:TGID_Z_EN: 0
; COMPUTE_PGM_RSRC2:TIDIG_COMP_CNT: 0
; COMPUTE_PGM_RSRC3_GFX90A:ACCUM_OFFSET: 1
; COMPUTE_PGM_RSRC3_GFX90A:TG_SPLIT: 0
	.section	.text._ZN7rocprim17ROCPRIM_304000_NS6detail31init_lookback_scan_state_kernelINS1_19lookback_scan_stateIhLb0ELb1EEEEEvT_jjPNS5_10value_typeE,"axG",@progbits,_ZN7rocprim17ROCPRIM_304000_NS6detail31init_lookback_scan_state_kernelINS1_19lookback_scan_stateIhLb0ELb1EEEEEvT_jjPNS5_10value_typeE,comdat
	.protected	_ZN7rocprim17ROCPRIM_304000_NS6detail31init_lookback_scan_state_kernelINS1_19lookback_scan_stateIhLb0ELb1EEEEEvT_jjPNS5_10value_typeE ; -- Begin function _ZN7rocprim17ROCPRIM_304000_NS6detail31init_lookback_scan_state_kernelINS1_19lookback_scan_stateIhLb0ELb1EEEEEvT_jjPNS5_10value_typeE
	.globl	_ZN7rocprim17ROCPRIM_304000_NS6detail31init_lookback_scan_state_kernelINS1_19lookback_scan_stateIhLb0ELb1EEEEEvT_jjPNS5_10value_typeE
	.p2align	8
	.type	_ZN7rocprim17ROCPRIM_304000_NS6detail31init_lookback_scan_state_kernelINS1_19lookback_scan_stateIhLb0ELb1EEEEEvT_jjPNS5_10value_typeE,@function
_ZN7rocprim17ROCPRIM_304000_NS6detail31init_lookback_scan_state_kernelINS1_19lookback_scan_stateIhLb0ELb1EEEEEvT_jjPNS5_10value_typeE: ; @_ZN7rocprim17ROCPRIM_304000_NS6detail31init_lookback_scan_state_kernelINS1_19lookback_scan_stateIhLb0ELb1EEEEEvT_jjPNS5_10value_typeE
; %bb.0:
	s_load_dword s3, s[0:1], 0x24
	s_load_dwordx2 s[8:9], s[0:1], 0x10
	s_load_dwordx4 s[4:7], s[0:1], 0x0
	s_waitcnt lgkmcnt(0)
	s_and_b32 s0, s3, 0xffff
	s_mul_i32 s2, s2, s0
	s_cmp_eq_u64 s[8:9], 0
	v_add_u32_e32 v0, s2, v0
	s_cbranch_scc1 .LBB1_7
; %bb.1:
	s_cmp_lt_u32 s7, s6
	s_cselect_b32 s0, s7, 0
	s_mov_b32 s3, 0
	v_cmp_eq_u32_e32 vcc, s0, v0
	s_and_saveexec_b64 s[0:1], vcc
	s_cbranch_execz .LBB1_6
; %bb.2:
	s_add_i32 s2, s7, 64
	s_lshl_b64 s[2:3], s[2:3], 1
	s_add_u32 s2, s4, s2
	s_addc_u32 s3, s5, s3
	v_mov_b32_e32 v2, 0
	global_load_ushort v1, v2, s[2:3] sc1
	s_movk_i32 s7, 0xff
	s_waitcnt vmcnt(0)
	v_cmp_lt_u16_e32 vcc, s7, v1
	s_cbranch_vccnz .LBB1_5
; %bb.3:
	s_movk_i32 s7, 0x100
.LBB1_4:                                ; =>This Inner Loop Header: Depth=1
	global_load_ushort v1, v2, s[2:3] sc1
	s_waitcnt vmcnt(0)
	v_cmp_gt_u16_e32 vcc, s7, v1
	s_cbranch_vccnz .LBB1_4
.LBB1_5:
	v_mov_b32_e32 v2, 0
	global_store_byte v2, v1, s[8:9]
.LBB1_6:
	s_or_b64 exec, exec, s[0:1]
.LBB1_7:
	v_cmp_gt_u32_e32 vcc, s6, v0
	s_and_saveexec_b64 s[0:1], vcc
	s_cbranch_execnz .LBB1_10
; %bb.8:
	s_or_b64 exec, exec, s[0:1]
	v_cmp_gt_u32_e32 vcc, 64, v0
	s_and_saveexec_b64 s[0:1], vcc
	s_cbranch_execnz .LBB1_11
.LBB1_9:
	s_endpgm
.LBB1_10:
	v_add_u32_e32 v2, 64, v0
	v_mov_b32_e32 v3, 0
	v_lshl_add_u64 v[4:5], v[2:3], 1, s[4:5]
	global_store_short v[4:5], v3, off
	s_or_b64 exec, exec, s[0:1]
	v_cmp_gt_u32_e32 vcc, 64, v0
	s_and_saveexec_b64 s[0:1], vcc
	s_cbranch_execz .LBB1_9
.LBB1_11:
	v_mov_b32_e32 v1, 0
	v_lshl_add_u64 v[0:1], v[0:1], 1, s[4:5]
	v_mov_b32_e32 v2, 0xffffff00
	global_store_short v[0:1], v2, off
	s_endpgm
	.section	.rodata,"a",@progbits
	.p2align	6, 0x0
	.amdhsa_kernel _ZN7rocprim17ROCPRIM_304000_NS6detail31init_lookback_scan_state_kernelINS1_19lookback_scan_stateIhLb0ELb1EEEEEvT_jjPNS5_10value_typeE
		.amdhsa_group_segment_fixed_size 0
		.amdhsa_private_segment_fixed_size 0
		.amdhsa_kernarg_size 280
		.amdhsa_user_sgpr_count 2
		.amdhsa_user_sgpr_dispatch_ptr 0
		.amdhsa_user_sgpr_queue_ptr 0
		.amdhsa_user_sgpr_kernarg_segment_ptr 1
		.amdhsa_user_sgpr_dispatch_id 0
		.amdhsa_user_sgpr_kernarg_preload_length 0
		.amdhsa_user_sgpr_kernarg_preload_offset 0
		.amdhsa_user_sgpr_private_segment_size 0
		.amdhsa_uses_dynamic_stack 0
		.amdhsa_enable_private_segment 0
		.amdhsa_system_sgpr_workgroup_id_x 1
		.amdhsa_system_sgpr_workgroup_id_y 0
		.amdhsa_system_sgpr_workgroup_id_z 0
		.amdhsa_system_sgpr_workgroup_info 0
		.amdhsa_system_vgpr_workitem_id 0
		.amdhsa_next_free_vgpr 6
		.amdhsa_next_free_sgpr 10
		.amdhsa_accum_offset 8
		.amdhsa_reserve_vcc 1
		.amdhsa_float_round_mode_32 0
		.amdhsa_float_round_mode_16_64 0
		.amdhsa_float_denorm_mode_32 3
		.amdhsa_float_denorm_mode_16_64 3
		.amdhsa_dx10_clamp 1
		.amdhsa_ieee_mode 1
		.amdhsa_fp16_overflow 0
		.amdhsa_tg_split 0
		.amdhsa_exception_fp_ieee_invalid_op 0
		.amdhsa_exception_fp_denorm_src 0
		.amdhsa_exception_fp_ieee_div_zero 0
		.amdhsa_exception_fp_ieee_overflow 0
		.amdhsa_exception_fp_ieee_underflow 0
		.amdhsa_exception_fp_ieee_inexact 0
		.amdhsa_exception_int_div_zero 0
	.end_amdhsa_kernel
	.section	.text._ZN7rocprim17ROCPRIM_304000_NS6detail31init_lookback_scan_state_kernelINS1_19lookback_scan_stateIhLb0ELb1EEEEEvT_jjPNS5_10value_typeE,"axG",@progbits,_ZN7rocprim17ROCPRIM_304000_NS6detail31init_lookback_scan_state_kernelINS1_19lookback_scan_stateIhLb0ELb1EEEEEvT_jjPNS5_10value_typeE,comdat
.Lfunc_end1:
	.size	_ZN7rocprim17ROCPRIM_304000_NS6detail31init_lookback_scan_state_kernelINS1_19lookback_scan_stateIhLb0ELb1EEEEEvT_jjPNS5_10value_typeE, .Lfunc_end1-_ZN7rocprim17ROCPRIM_304000_NS6detail31init_lookback_scan_state_kernelINS1_19lookback_scan_stateIhLb0ELb1EEEEEvT_jjPNS5_10value_typeE
                                        ; -- End function
	.section	.AMDGPU.csdata,"",@progbits
; Kernel info:
; codeLenInByte = 264
; NumSgprs: 16
; NumVgprs: 6
; NumAgprs: 0
; TotalNumVgprs: 6
; ScratchSize: 0
; MemoryBound: 0
; FloatMode: 240
; IeeeMode: 1
; LDSByteSize: 0 bytes/workgroup (compile time only)
; SGPRBlocks: 1
; VGPRBlocks: 0
; NumSGPRsForWavesPerEU: 16
; NumVGPRsForWavesPerEU: 6
; AccumOffset: 8
; Occupancy: 8
; WaveLimiterHint : 0
; COMPUTE_PGM_RSRC2:SCRATCH_EN: 0
; COMPUTE_PGM_RSRC2:USER_SGPR: 2
; COMPUTE_PGM_RSRC2:TRAP_HANDLER: 0
; COMPUTE_PGM_RSRC2:TGID_X_EN: 1
; COMPUTE_PGM_RSRC2:TGID_Y_EN: 0
; COMPUTE_PGM_RSRC2:TGID_Z_EN: 0
; COMPUTE_PGM_RSRC2:TIDIG_COMP_CNT: 0
; COMPUTE_PGM_RSRC3_GFX90A:ACCUM_OFFSET: 1
; COMPUTE_PGM_RSRC3_GFX90A:TG_SPLIT: 0
	.section	.text._ZN7rocprim17ROCPRIM_304000_NS6detail20lookback_scan_kernelILNS1_25lookback_scan_determinismE0ELb0ENS1_19wrapped_scan_configINS0_14default_configEhEEPKhPhSt10multipliesIhEhhNS1_19lookback_scan_stateIhLb1ELb1EEEEEvT2_T3_mT5_T4_T7_jPT6_SK_bb,"axG",@progbits,_ZN7rocprim17ROCPRIM_304000_NS6detail20lookback_scan_kernelILNS1_25lookback_scan_determinismE0ELb0ENS1_19wrapped_scan_configINS0_14default_configEhEEPKhPhSt10multipliesIhEhhNS1_19lookback_scan_stateIhLb1ELb1EEEEEvT2_T3_mT5_T4_T7_jPT6_SK_bb,comdat
	.protected	_ZN7rocprim17ROCPRIM_304000_NS6detail20lookback_scan_kernelILNS1_25lookback_scan_determinismE0ELb0ENS1_19wrapped_scan_configINS0_14default_configEhEEPKhPhSt10multipliesIhEhhNS1_19lookback_scan_stateIhLb1ELb1EEEEEvT2_T3_mT5_T4_T7_jPT6_SK_bb ; -- Begin function _ZN7rocprim17ROCPRIM_304000_NS6detail20lookback_scan_kernelILNS1_25lookback_scan_determinismE0ELb0ENS1_19wrapped_scan_configINS0_14default_configEhEEPKhPhSt10multipliesIhEhhNS1_19lookback_scan_stateIhLb1ELb1EEEEEvT2_T3_mT5_T4_T7_jPT6_SK_bb
	.globl	_ZN7rocprim17ROCPRIM_304000_NS6detail20lookback_scan_kernelILNS1_25lookback_scan_determinismE0ELb0ENS1_19wrapped_scan_configINS0_14default_configEhEEPKhPhSt10multipliesIhEhhNS1_19lookback_scan_stateIhLb1ELb1EEEEEvT2_T3_mT5_T4_T7_jPT6_SK_bb
	.p2align	8
	.type	_ZN7rocprim17ROCPRIM_304000_NS6detail20lookback_scan_kernelILNS1_25lookback_scan_determinismE0ELb0ENS1_19wrapped_scan_configINS0_14default_configEhEEPKhPhSt10multipliesIhEhhNS1_19lookback_scan_stateIhLb1ELb1EEEEEvT2_T3_mT5_T4_T7_jPT6_SK_bb,@function
_ZN7rocprim17ROCPRIM_304000_NS6detail20lookback_scan_kernelILNS1_25lookback_scan_determinismE0ELb0ENS1_19wrapped_scan_configINS0_14default_configEhEEPKhPhSt10multipliesIhEhhNS1_19lookback_scan_stateIhLb1ELb1EEEEEvT2_T3_mT5_T4_T7_jPT6_SK_bb: ; @_ZN7rocprim17ROCPRIM_304000_NS6detail20lookback_scan_kernelILNS1_25lookback_scan_determinismE0ELb0ENS1_19wrapped_scan_configINS0_14default_configEhEEPKhPhSt10multipliesIhEhhNS1_19lookback_scan_stateIhLb1ELb1EEEEEvT2_T3_mT5_T4_T7_jPT6_SK_bb
; %bb.0:
	s_endpgm
	.section	.rodata,"a",@progbits
	.p2align	6, 0x0
	.amdhsa_kernel _ZN7rocprim17ROCPRIM_304000_NS6detail20lookback_scan_kernelILNS1_25lookback_scan_determinismE0ELb0ENS1_19wrapped_scan_configINS0_14default_configEhEEPKhPhSt10multipliesIhEhhNS1_19lookback_scan_stateIhLb1ELb1EEEEEvT2_T3_mT5_T4_T7_jPT6_SK_bb
		.amdhsa_group_segment_fixed_size 0
		.amdhsa_private_segment_fixed_size 0
		.amdhsa_kernarg_size 68
		.amdhsa_user_sgpr_count 2
		.amdhsa_user_sgpr_dispatch_ptr 0
		.amdhsa_user_sgpr_queue_ptr 0
		.amdhsa_user_sgpr_kernarg_segment_ptr 1
		.amdhsa_user_sgpr_dispatch_id 0
		.amdhsa_user_sgpr_kernarg_preload_length 0
		.amdhsa_user_sgpr_kernarg_preload_offset 0
		.amdhsa_user_sgpr_private_segment_size 0
		.amdhsa_uses_dynamic_stack 0
		.amdhsa_enable_private_segment 0
		.amdhsa_system_sgpr_workgroup_id_x 1
		.amdhsa_system_sgpr_workgroup_id_y 0
		.amdhsa_system_sgpr_workgroup_id_z 0
		.amdhsa_system_sgpr_workgroup_info 0
		.amdhsa_system_vgpr_workitem_id 0
		.amdhsa_next_free_vgpr 1
		.amdhsa_next_free_sgpr 0
		.amdhsa_accum_offset 4
		.amdhsa_reserve_vcc 0
		.amdhsa_float_round_mode_32 0
		.amdhsa_float_round_mode_16_64 0
		.amdhsa_float_denorm_mode_32 3
		.amdhsa_float_denorm_mode_16_64 3
		.amdhsa_dx10_clamp 1
		.amdhsa_ieee_mode 1
		.amdhsa_fp16_overflow 0
		.amdhsa_tg_split 0
		.amdhsa_exception_fp_ieee_invalid_op 0
		.amdhsa_exception_fp_denorm_src 0
		.amdhsa_exception_fp_ieee_div_zero 0
		.amdhsa_exception_fp_ieee_overflow 0
		.amdhsa_exception_fp_ieee_underflow 0
		.amdhsa_exception_fp_ieee_inexact 0
		.amdhsa_exception_int_div_zero 0
	.end_amdhsa_kernel
	.section	.text._ZN7rocprim17ROCPRIM_304000_NS6detail20lookback_scan_kernelILNS1_25lookback_scan_determinismE0ELb0ENS1_19wrapped_scan_configINS0_14default_configEhEEPKhPhSt10multipliesIhEhhNS1_19lookback_scan_stateIhLb1ELb1EEEEEvT2_T3_mT5_T4_T7_jPT6_SK_bb,"axG",@progbits,_ZN7rocprim17ROCPRIM_304000_NS6detail20lookback_scan_kernelILNS1_25lookback_scan_determinismE0ELb0ENS1_19wrapped_scan_configINS0_14default_configEhEEPKhPhSt10multipliesIhEhhNS1_19lookback_scan_stateIhLb1ELb1EEEEEvT2_T3_mT5_T4_T7_jPT6_SK_bb,comdat
.Lfunc_end2:
	.size	_ZN7rocprim17ROCPRIM_304000_NS6detail20lookback_scan_kernelILNS1_25lookback_scan_determinismE0ELb0ENS1_19wrapped_scan_configINS0_14default_configEhEEPKhPhSt10multipliesIhEhhNS1_19lookback_scan_stateIhLb1ELb1EEEEEvT2_T3_mT5_T4_T7_jPT6_SK_bb, .Lfunc_end2-_ZN7rocprim17ROCPRIM_304000_NS6detail20lookback_scan_kernelILNS1_25lookback_scan_determinismE0ELb0ENS1_19wrapped_scan_configINS0_14default_configEhEEPKhPhSt10multipliesIhEhhNS1_19lookback_scan_stateIhLb1ELb1EEEEEvT2_T3_mT5_T4_T7_jPT6_SK_bb
                                        ; -- End function
	.section	.AMDGPU.csdata,"",@progbits
; Kernel info:
; codeLenInByte = 4
; NumSgprs: 6
; NumVgprs: 0
; NumAgprs: 0
; TotalNumVgprs: 0
; ScratchSize: 0
; MemoryBound: 0
; FloatMode: 240
; IeeeMode: 1
; LDSByteSize: 0 bytes/workgroup (compile time only)
; SGPRBlocks: 0
; VGPRBlocks: 0
; NumSGPRsForWavesPerEU: 6
; NumVGPRsForWavesPerEU: 1
; AccumOffset: 4
; Occupancy: 8
; WaveLimiterHint : 0
; COMPUTE_PGM_RSRC2:SCRATCH_EN: 0
; COMPUTE_PGM_RSRC2:USER_SGPR: 2
; COMPUTE_PGM_RSRC2:TRAP_HANDLER: 0
; COMPUTE_PGM_RSRC2:TGID_X_EN: 1
; COMPUTE_PGM_RSRC2:TGID_Y_EN: 0
; COMPUTE_PGM_RSRC2:TGID_Z_EN: 0
; COMPUTE_PGM_RSRC2:TIDIG_COMP_CNT: 0
; COMPUTE_PGM_RSRC3_GFX90A:ACCUM_OFFSET: 0
; COMPUTE_PGM_RSRC3_GFX90A:TG_SPLIT: 0
	.section	.text._ZN7rocprim17ROCPRIM_304000_NS6detail20lookback_scan_kernelILNS1_25lookback_scan_determinismE0ELb0ENS1_19wrapped_scan_configINS0_14default_configEhEEPKhPhSt10multipliesIhEhhNS1_19lookback_scan_stateIhLb0ELb1EEEEEvT2_T3_mT5_T4_T7_jPT6_SK_bb,"axG",@progbits,_ZN7rocprim17ROCPRIM_304000_NS6detail20lookback_scan_kernelILNS1_25lookback_scan_determinismE0ELb0ENS1_19wrapped_scan_configINS0_14default_configEhEEPKhPhSt10multipliesIhEhhNS1_19lookback_scan_stateIhLb0ELb1EEEEEvT2_T3_mT5_T4_T7_jPT6_SK_bb,comdat
	.protected	_ZN7rocprim17ROCPRIM_304000_NS6detail20lookback_scan_kernelILNS1_25lookback_scan_determinismE0ELb0ENS1_19wrapped_scan_configINS0_14default_configEhEEPKhPhSt10multipliesIhEhhNS1_19lookback_scan_stateIhLb0ELb1EEEEEvT2_T3_mT5_T4_T7_jPT6_SK_bb ; -- Begin function _ZN7rocprim17ROCPRIM_304000_NS6detail20lookback_scan_kernelILNS1_25lookback_scan_determinismE0ELb0ENS1_19wrapped_scan_configINS0_14default_configEhEEPKhPhSt10multipliesIhEhhNS1_19lookback_scan_stateIhLb0ELb1EEEEEvT2_T3_mT5_T4_T7_jPT6_SK_bb
	.globl	_ZN7rocprim17ROCPRIM_304000_NS6detail20lookback_scan_kernelILNS1_25lookback_scan_determinismE0ELb0ENS1_19wrapped_scan_configINS0_14default_configEhEEPKhPhSt10multipliesIhEhhNS1_19lookback_scan_stateIhLb0ELb1EEEEEvT2_T3_mT5_T4_T7_jPT6_SK_bb
	.p2align	8
	.type	_ZN7rocprim17ROCPRIM_304000_NS6detail20lookback_scan_kernelILNS1_25lookback_scan_determinismE0ELb0ENS1_19wrapped_scan_configINS0_14default_configEhEEPKhPhSt10multipliesIhEhhNS1_19lookback_scan_stateIhLb0ELb1EEEEEvT2_T3_mT5_T4_T7_jPT6_SK_bb,@function
_ZN7rocprim17ROCPRIM_304000_NS6detail20lookback_scan_kernelILNS1_25lookback_scan_determinismE0ELb0ENS1_19wrapped_scan_configINS0_14default_configEhEEPKhPhSt10multipliesIhEhhNS1_19lookback_scan_stateIhLb0ELb1EEEEEvT2_T3_mT5_T4_T7_jPT6_SK_bb: ; @_ZN7rocprim17ROCPRIM_304000_NS6detail20lookback_scan_kernelILNS1_25lookback_scan_determinismE0ELb0ENS1_19wrapped_scan_configINS0_14default_configEhEEPKhPhSt10multipliesIhEhhNS1_19lookback_scan_stateIhLb0ELb1EEEEEvT2_T3_mT5_T4_T7_jPT6_SK_bb
; %bb.0:
	s_load_dword s3, s[0:1], 0x28
	s_load_dwordx2 s[4:5], s[0:1], 0x10
	s_load_dwordx4 s[12:15], s[0:1], 0x0
	s_mul_i32 s22, s2, 0x1800
	s_waitcnt lgkmcnt(0)
	s_add_i32 s3, s3, -1
	s_mul_i32 s6, s3, 0x1800
	s_sub_u32 s20, s4, s6
	s_subb_u32 s21, s5, 0
	s_cmp_lg_u32 s2, s3
	s_cselect_b64 s[16:17], -1, 0
	s_add_u32 s6, s12, s22
	s_addc_u32 s7, s13, 0
	s_mov_b64 s[4:5], -1
	s_and_b64 vcc, exec, s[16:17]
	s_cbranch_vccz .LBB3_2
; %bb.1:
	v_mov_b32_e32 v1, 0
	v_lshl_add_u64 v[2:3], s[6:7], 0, v[0:1]
	s_movk_i32 s3, 0x1000
	v_add_co_u32_e32 v2, vcc, s3, v2
	global_load_ubyte v1, v0, s[6:7]
	global_load_ubyte v4, v0, s[6:7] offset:256
	global_load_ubyte v5, v0, s[6:7] offset:512
	;; [unrolled: 1-line block ×15, first 2 shown]
	v_addc_co_u32_e32 v3, vcc, 0, v3, vcc
	global_load_ubyte v19, v[2:3], off
	global_load_ubyte v20, v[2:3], off offset:256
	global_load_ubyte v21, v[2:3], off offset:512
	;; [unrolled: 1-line block ×7, first 2 shown]
	s_mov_b64 s[4:5], 0
	s_waitcnt vmcnt(23)
	ds_write_b8 v0, v1
	s_waitcnt vmcnt(22)
	ds_write_b8 v0, v4 offset:256
	s_waitcnt vmcnt(21)
	ds_write_b8 v0, v5 offset:512
	;; [unrolled: 2-line block ×23, first 2 shown]
	s_waitcnt lgkmcnt(0)
	s_barrier
.LBB3_2:
	s_andn2_b64 vcc, exec, s[4:5]
	v_cmp_gt_u32_e64 s[4:5], s20, v0
	s_cbranch_vccnz .LBB3_52
; %bb.3:
	v_mov_b32_e32 v1, 0
	global_load_ubyte v4, v1, s[6:7]
	v_lshl_add_u64 v[2:3], s[6:7], 0, v[0:1]
	s_waitcnt vmcnt(0)
	v_mov_b32_e32 v1, v4
	s_and_saveexec_b64 s[6:7], s[4:5]
	s_cbranch_execz .LBB3_5
; %bb.4:
	global_load_ubyte v1, v[2:3], off
.LBB3_5:
	s_or_b64 exec, exec, s[6:7]
	v_or_b32_e32 v5, 0x100, v0
	v_cmp_gt_u32_e32 vcc, s20, v5
	v_mov_b32_e32 v5, v4
	s_and_saveexec_b64 s[4:5], vcc
	s_cbranch_execz .LBB3_7
; %bb.6:
	global_load_ubyte v5, v[2:3], off offset:256
.LBB3_7:
	s_or_b64 exec, exec, s[4:5]
	v_or_b32_e32 v6, 0x200, v0
	v_cmp_gt_u32_e32 vcc, s20, v6
	v_mov_b32_e32 v6, v4
	s_and_saveexec_b64 s[4:5], vcc
	s_cbranch_execz .LBB3_9
; %bb.8:
	global_load_ubyte v6, v[2:3], off offset:512
.LBB3_9:
	;; [unrolled: 9-line block ×15, first 2 shown]
	s_or_b64 exec, exec, s[4:5]
	v_or_b32_e32 v20, 0x1000, v0
	v_cmp_gt_u32_e32 vcc, s20, v20
	v_mov_b32_e32 v20, v4
	s_and_saveexec_b64 s[4:5], vcc
	s_cbranch_execz .LBB3_37
; %bb.36:
	v_add_co_u32_e32 v20, vcc, 0x1000, v2
	s_nop 1
	v_addc_co_u32_e32 v21, vcc, 0, v3, vcc
	global_load_ubyte v20, v[20:21], off
.LBB3_37:
	s_or_b64 exec, exec, s[4:5]
	v_or_b32_e32 v21, 0x1100, v0
	v_cmp_gt_u32_e32 vcc, s20, v21
	v_mov_b32_e32 v21, v4
	s_and_saveexec_b64 s[4:5], vcc
	s_cbranch_execz .LBB3_39
; %bb.38:
	v_add_co_u32_e32 v22, vcc, 0x1000, v2
	s_nop 1
	v_addc_co_u32_e32 v23, vcc, 0, v3, vcc
	global_load_ubyte v21, v[22:23], off offset:256
.LBB3_39:
	s_or_b64 exec, exec, s[4:5]
	v_or_b32_e32 v22, 0x1200, v0
	v_cmp_gt_u32_e32 vcc, s20, v22
	v_mov_b32_e32 v22, v4
	s_and_saveexec_b64 s[4:5], vcc
	s_cbranch_execz .LBB3_41
; %bb.40:
	v_add_co_u32_e32 v22, vcc, 0x1000, v2
	s_nop 1
	v_addc_co_u32_e32 v23, vcc, 0, v3, vcc
	global_load_ubyte v22, v[22:23], off offset:512
.LBB3_41:
	;; [unrolled: 12-line block ×6, first 2 shown]
	s_or_b64 exec, exec, s[4:5]
	v_or_b32_e32 v27, 0x1700, v0
	v_cmp_gt_u32_e32 vcc, s20, v27
	s_and_saveexec_b64 s[4:5], vcc
	s_cbranch_execz .LBB3_51
; %bb.50:
	v_add_co_u32_e32 v2, vcc, 0x1000, v2
	s_nop 1
	v_addc_co_u32_e32 v3, vcc, 0, v3, vcc
	global_load_ubyte v4, v[2:3], off offset:1792
.LBB3_51:
	s_or_b64 exec, exec, s[4:5]
	s_waitcnt vmcnt(0)
	ds_write_b8 v0, v1
	ds_write_b8 v0, v5 offset:256
	ds_write_b8 v0, v6 offset:512
	ds_write_b8 v0, v7 offset:768
	ds_write_b8 v0, v8 offset:1024
	ds_write_b8 v0, v9 offset:1280
	ds_write_b8 v0, v10 offset:1536
	ds_write_b8 v0, v11 offset:1792
	ds_write_b8 v0, v12 offset:2048
	ds_write_b8 v0, v13 offset:2304
	ds_write_b8 v0, v14 offset:2560
	ds_write_b8 v0, v15 offset:2816
	ds_write_b8 v0, v16 offset:3072
	ds_write_b8 v0, v17 offset:3328
	ds_write_b8 v0, v18 offset:3584
	ds_write_b8 v0, v19 offset:3840
	ds_write_b8 v0, v20 offset:4096
	ds_write_b8 v0, v21 offset:4352
	ds_write_b8 v0, v22 offset:4608
	ds_write_b8 v0, v23 offset:4864
	ds_write_b8 v0, v24 offset:5120
	ds_write_b8 v0, v25 offset:5376
	ds_write_b8 v0, v26 offset:5632
	ds_write_b8 v0, v4 offset:5888
	s_waitcnt lgkmcnt(0)
	s_barrier
.LBB3_52:
	v_mul_u32_u24_e32 v14, 24, v0
	ds_read2_b64 v[2:5], v14 offset1:1
	ds_read_b64 v[6:7], v14 offset:16
	s_load_dwordx2 s[12:13], s[0:1], 0x20
	s_cmp_lg_u32 s2, 0
	v_mbcnt_lo_u32_b32 v22, -1, 0
	s_waitcnt lgkmcnt(0)
	v_lshrrev_b32_e32 v19, 8, v2
	v_lshrrev_b32_e32 v18, 8, v3
	;; [unrolled: 1-line block ×7, first 2 shown]
	v_or_b32_e32 v21, 63, v0
	s_barrier
	s_cbranch_scc0 .LBB3_79
; %bb.53:
	v_mul_lo_u16_e32 v8, v19, v2
	v_mul_lo_u16_sdwa v8, v8, v2 dst_sel:DWORD dst_unused:UNUSED_PAD src0_sel:DWORD src1_sel:WORD_1
	v_mul_lo_u16_sdwa v8, v8, v2 dst_sel:DWORD dst_unused:UNUSED_PAD src0_sel:DWORD src1_sel:BYTE_3
	v_mul_lo_u16_e32 v8, v8, v3
	v_mul_lo_u16_e32 v8, v8, v18
	v_mul_lo_u16_sdwa v8, v8, v3 dst_sel:DWORD dst_unused:UNUSED_PAD src0_sel:DWORD src1_sel:WORD_1
	v_mul_lo_u16_sdwa v8, v8, v3 dst_sel:DWORD dst_unused:UNUSED_PAD src0_sel:DWORD src1_sel:BYTE_3
	v_mul_lo_u16_e32 v8, v8, v4
	;; [unrolled: 4-line block ×5, first 2 shown]
	v_mul_lo_u16_e32 v8, v8, v1
	v_mul_lo_u16_sdwa v8, v8, v7 dst_sel:DWORD dst_unused:UNUSED_PAD src0_sel:DWORD src1_sel:WORD_1
	v_mul_lo_u16_sdwa v8, v8, v7 dst_sel:DWORD dst_unused:UNUSED_PAD src0_sel:DWORD src1_sel:BYTE_3
	v_and_b32_e32 v11, 0xff, v8
	v_mbcnt_hi_u32_b32 v9, -1, v22
	v_and_b32_e32 v10, 15, v9
	v_mov_b32_dpp v12, v11 row_shr:1 row_mask:0xf bank_mask:0xf
	v_mul_lo_u16_e32 v12, v8, v12
	v_and_b32_e32 v13, 0xff, v12
	v_cmp_eq_u32_e32 vcc, 0, v10
	s_nop 1
	v_cndmask_b32_e32 v11, v13, v11, vcc
	v_cndmask_b32_e32 v8, v12, v8, vcc
	v_cmp_lt_u32_e32 vcc, 1, v10
	v_mov_b32_dpp v12, v11 row_shr:2 row_mask:0xf bank_mask:0xf
	v_mul_lo_u16_e32 v12, v8, v12
	v_and_b32_e32 v13, 0xff, v12
	v_cndmask_b32_e32 v11, v11, v13, vcc
	v_cndmask_b32_e32 v8, v8, v12, vcc
	v_cmp_lt_u32_e32 vcc, 3, v10
	v_mov_b32_dpp v12, v11 row_shr:4 row_mask:0xf bank_mask:0xf
	v_mul_lo_u16_e32 v12, v8, v12
	v_and_b32_e32 v13, 0xff, v12
	;; [unrolled: 6-line block ×3, first 2 shown]
	v_cndmask_b32_e32 v10, v11, v13, vcc
	v_cndmask_b32_e32 v8, v8, v12, vcc
	v_and_b32_e32 v12, 16, v9
	v_mov_b32_dpp v11, v10 row_bcast:15 row_mask:0xf bank_mask:0xf
	v_mul_lo_u16_e32 v11, v8, v11
	v_and_b32_e32 v13, 0xff, v11
	v_cmp_eq_u32_e32 vcc, 0, v12
	s_nop 1
	v_cndmask_b32_e32 v10, v13, v10, vcc
	v_cndmask_b32_e32 v8, v11, v8, vcc
	v_cmp_lt_u32_e32 vcc, 31, v9
	v_mov_b32_dpp v10, v10 row_bcast:31 row_mask:0xf bank_mask:0xf
	s_nop 0
	v_cndmask_b32_e32 v10, 1, v10, vcc
	v_mul_lo_u16_e32 v8, v8, v10
	v_cmp_eq_u32_e32 vcc, v21, v0
	s_and_saveexec_b64 s[4:5], vcc
	s_cbranch_execz .LBB3_55
; %bb.54:
	ds_write_b8 v20, v8
.LBB3_55:
	s_or_b64 exec, exec, s[4:5]
	v_cmp_gt_u32_e32 vcc, 4, v0
	s_waitcnt lgkmcnt(0)
	s_barrier
	s_and_saveexec_b64 s[4:5], vcc
	s_cbranch_execz .LBB3_57
; %bb.56:
	ds_read_u8 v10, v0
	v_and_b32_e32 v11, 3, v9
	v_cmp_eq_u32_e32 vcc, 0, v11
	s_waitcnt lgkmcnt(0)
	v_and_b32_e32 v12, 0xff, v10
	s_nop 1
	v_mov_b32_dpp v13, v12 row_shr:1 row_mask:0xf bank_mask:0xf
	v_mul_lo_u16_e32 v13, v10, v13
	v_and_b32_e32 v23, 0xff, v13
	v_cndmask_b32_e32 v12, v23, v12, vcc
	v_cndmask_b32_e32 v10, v13, v10, vcc
	v_cmp_lt_u32_e32 vcc, 1, v11
	v_mov_b32_dpp v12, v12 row_shr:2 row_mask:0xf bank_mask:0xf
	s_nop 0
	v_cndmask_b32_e32 v11, 1, v12, vcc
	v_mul_lo_u16_e32 v10, v10, v11
	ds_write_b8 v0, v10
.LBB3_57:
	s_or_b64 exec, exec, s[4:5]
	v_cmp_gt_u32_e32 vcc, 64, v0
	v_cmp_lt_u32_e64 s[4:5], 63, v0
	s_waitcnt lgkmcnt(0)
	s_barrier
	s_waitcnt lgkmcnt(0)
                                        ; implicit-def: $vgpr23
	s_and_saveexec_b64 s[6:7], s[4:5]
	s_cbranch_execz .LBB3_59
; %bb.58:
	v_add_u32_e32 v10, -1, v20
	ds_read_u8 v23, v10
	s_waitcnt lgkmcnt(0)
	v_mul_lo_u16_e32 v8, v23, v8
.LBB3_59:
	s_or_b64 exec, exec, s[6:7]
	v_add_u32_e32 v10, -1, v9
	v_and_b32_e32 v11, 64, v9
	v_cmp_lt_i32_e64 s[4:5], v10, v11
	v_and_b32_e32 v8, 0xff, v8
	s_nop 0
	v_cndmask_b32_e64 v10, v10, v9, s[4:5]
	v_lshlrev_b32_e32 v10, 2, v10
	ds_bpermute_b32 v24, v10, v8
	v_cmp_eq_u32_e64 s[4:5], 0, v9
	s_and_saveexec_b64 s[18:19], vcc
	s_cbranch_execz .LBB3_78
; %bb.60:
	v_mov_b32_e32 v11, 0
	ds_read_u8 v25, v11 offset:3
	s_and_saveexec_b64 s[6:7], s[4:5]
	s_cbranch_execz .LBB3_62
; %bb.61:
	s_add_i32 s8, s2, 64
	s_mov_b32 s9, 0
	s_lshl_b64 s[8:9], s[8:9], 1
	s_add_u32 s8, s12, s8
	s_movk_i32 s3, 0x100
	s_addc_u32 s9, s13, s9
	s_waitcnt lgkmcnt(0)
	v_or_b32_sdwa v8, v25, s3 dst_sel:DWORD dst_unused:UNUSED_PAD src0_sel:BYTE_0 src1_sel:DWORD
	global_store_short v11, v8, s[8:9] sc1
.LBB3_62:
	s_or_b64 exec, exec, s[6:7]
	v_xad_u32 v8, v9, -1, s2
	v_add_u32_e32 v10, 64, v8
	v_lshl_add_u64 v[10:11], v[10:11], 1, s[12:13]
	global_load_ushort v12, v[10:11], off sc1
	s_waitcnt vmcnt(0)
	v_lshrrev_b16_e32 v26, 8, v12
	v_cmp_eq_u16_e32 vcc, 0, v26
	s_and_saveexec_b64 s[6:7], vcc
	s_cbranch_execz .LBB3_66
; %bb.63:
	s_mov_b64 s[8:9], 0
	v_mov_b32_e32 v13, 0
.LBB3_64:                               ; =>This Inner Loop Header: Depth=1
	global_load_ushort v12, v[10:11], off sc1
	s_waitcnt vmcnt(0)
	v_cmp_ne_u16_sdwa s[10:11], v12, v13 src0_sel:BYTE_1 src1_sel:DWORD
	s_or_b64 s[8:9], s[10:11], s[8:9]
	v_lshrrev_b16_e32 v26, 8, v12
	s_andn2_b64 exec, exec, s[8:9]
	s_cbranch_execnz .LBB3_64
; %bb.65:
	s_or_b64 exec, exec, s[8:9]
.LBB3_66:
	s_or_b64 exec, exec, s[6:7]
	v_cmp_eq_u16_e32 vcc, 2, v26
	v_lshlrev_b64 v[10:11], v9, -1
	v_and_b32_e32 v37, 63, v9
	v_and_b32_e32 v13, vcc_hi, v11
	v_and_b32_e32 v28, vcc_lo, v10
	v_cmp_ne_u32_e32 vcc, 63, v37
	v_and_b32_e32 v29, 0xff, v12
	v_or_b32_e32 v13, 0x80000000, v13
	v_addc_co_u32_e32 v27, vcc, 0, v9, vcc
	v_lshlrev_b32_e32 v27, 2, v27
	ds_bpermute_b32 v30, v27, v29
	v_ffbl_b32_e32 v13, v13
	v_add_u32_e32 v13, 32, v13
	v_ffbl_b32_e32 v28, v28
	v_min_u32_e32 v13, v28, v13
	v_add_u32_e32 v28, 1, v9
	s_waitcnt lgkmcnt(0)
	v_mul_lo_u16_e32 v30, v12, v30
	v_and_b32_e32 v31, 0xff, v30
	v_cmp_le_u32_e32 vcc, v28, v13
	v_cmp_gt_u32_e64 s[6:7], 62, v37
	v_cmp_gt_u32_e64 s[8:9], 60, v37
	v_cndmask_b32_e32 v31, v29, v31, vcc
	v_cndmask_b32_e64 v29, 0, 1, s[6:7]
	v_lshlrev_b32_e32 v29, 1, v29
	v_add_lshl_u32 v29, v29, v9, 2
	ds_bpermute_b32 v32, v29, v31
	v_cndmask_b32_e32 v33, v12, v30, vcc
	v_add_u32_e32 v30, 2, v9
	v_cmp_le_u32_e64 s[6:7], v30, v13
	v_cmp_gt_u32_e64 s[10:11], 56, v37
	s_waitcnt lgkmcnt(0)
	v_mul_lo_u16_e32 v32, v33, v32
	v_and_b32_e32 v34, 0xff, v32
	v_cndmask_b32_e64 v34, v31, v34, s[6:7]
	v_cndmask_b32_e64 v31, 0, 1, s[8:9]
	v_lshlrev_b32_e32 v31, 2, v31
	v_add_lshl_u32 v31, v31, v9, 2
	ds_bpermute_b32 v35, v31, v34
	v_cndmask_b32_e64 v36, v33, v32, s[6:7]
	v_add_u32_e32 v32, 4, v9
	v_cmp_le_u32_e64 s[8:9], v32, v13
	s_waitcnt lgkmcnt(0)
	v_mul_lo_u16_e32 v35, v36, v35
	v_and_b32_e32 v33, 0xff, v35
	v_cndmask_b32_e64 v38, v34, v33, s[8:9]
	v_cndmask_b32_e64 v33, 0, 1, s[10:11]
	v_lshlrev_b32_e32 v33, 3, v33
	v_add_lshl_u32 v33, v33, v9, 2
	ds_bpermute_b32 v39, v33, v38
	v_cndmask_b32_e64 v36, v36, v35, s[8:9]
	v_add_u32_e32 v34, 8, v9
	s_or_b64 s[10:11], vcc, s[6:7]
	v_cmp_le_u32_e32 vcc, v34, v13
	s_waitcnt lgkmcnt(0)
	v_mul_lo_u16_e32 v39, v36, v39
	v_and_b32_e32 v35, 0xff, v39
	v_cmp_gt_u32_e64 s[6:7], 48, v37
	v_cndmask_b32_e32 v38, v38, v35, vcc
	v_cndmask_b32_e32 v41, v36, v39, vcc
	v_cndmask_b32_e64 v35, 0, 1, s[6:7]
	v_lshlrev_b32_e32 v35, 4, v35
	v_add_lshl_u32 v35, v35, v9, 2
	ds_bpermute_b32 v40, v35, v38
	s_or_b64 s[6:7], s[8:9], s[10:11]
	s_or_b64 s[8:9], vcc, s[6:7]
	v_cmp_gt_u32_e64 s[6:7], 32, v37
	v_add_u32_e32 v36, 16, v9
	s_waitcnt lgkmcnt(0)
	v_mul_lo_u16_e32 v40, v41, v40
	v_cndmask_b32_e64 v37, 0, 1, s[6:7]
	v_and_b32_e32 v39, 0xff, v40
	v_cmp_le_u32_e32 vcc, v36, v13
	v_lshlrev_b32_e32 v37, 5, v37
	s_or_b64 s[6:7], vcc, s[8:9]
	v_cndmask_b32_e32 v39, v38, v39, vcc
	v_add_lshl_u32 v38, v37, v9, 2
	ds_bpermute_b32 v37, v38, v39
	v_add_u32_e32 v39, 32, v9
	v_cndmask_b32_e32 v9, v41, v40, vcc
	v_cmp_le_u32_e32 vcc, v39, v13
	v_mov_b32_e32 v40, 2
	s_waitcnt lgkmcnt(0)
	v_cndmask_b32_e32 v13, 1, v37, vcc
	v_mul_lo_u16_e32 v9, v9, v13
	s_or_b64 vcc, vcc, s[6:7]
	v_cndmask_b32_e32 v12, v12, v9, vcc
	v_mov_b32_e32 v9, 0
	s_branch .LBB3_68
.LBB3_67:                               ;   in Loop: Header=BB3_68 Depth=1
	s_or_b64 exec, exec, s[6:7]
	v_and_b32_e32 v42, 0xff, v41
	v_cmp_eq_u16_e32 vcc, 2, v26
	ds_bpermute_b32 v43, v27, v42
	v_subrev_u32_e32 v8, 64, v8
	v_and_b32_e32 v12, vcc_hi, v11
	v_or_b32_e32 v12, 0x80000000, v12
	v_and_b32_e32 v13, vcc_lo, v10
	v_ffbl_b32_e32 v12, v12
	v_add_u32_e32 v12, 32, v12
	v_ffbl_b32_e32 v13, v13
	v_min_u32_e32 v12, v13, v12
	s_waitcnt lgkmcnt(0)
	v_mul_lo_u16_e32 v13, v41, v43
	v_and_b32_e32 v43, 0xff, v13
	v_cmp_le_u32_e32 vcc, v28, v12
	v_cmp_le_u32_e64 s[6:7], v30, v12
	v_cmp_le_u32_e64 s[8:9], v32, v12
	v_cndmask_b32_e32 v42, v42, v43, vcc
	ds_bpermute_b32 v43, v29, v42
	v_cndmask_b32_e32 v13, v41, v13, vcc
	v_cmp_le_u32_e64 s[10:11], v34, v12
	s_waitcnt lgkmcnt(0)
	v_mul_lo_u16_e32 v43, v13, v43
	v_and_b32_e32 v44, 0xff, v43
	v_cndmask_b32_e64 v42, v42, v44, s[6:7]
	ds_bpermute_b32 v44, v31, v42
	v_cndmask_b32_e64 v13, v13, v43, s[6:7]
	s_or_b64 s[6:7], vcc, s[6:7]
	v_cmp_le_u32_e32 vcc, v36, v12
	s_or_b64 s[6:7], s[8:9], s[6:7]
	s_waitcnt lgkmcnt(0)
	v_mul_lo_u16_e32 v43, v13, v44
	v_and_b32_e32 v44, 0xff, v43
	v_cndmask_b32_e64 v42, v42, v44, s[8:9]
	ds_bpermute_b32 v44, v33, v42
	v_cndmask_b32_e64 v13, v13, v43, s[8:9]
	s_or_b64 s[6:7], s[10:11], s[6:7]
	s_or_b64 s[6:7], vcc, s[6:7]
	s_waitcnt lgkmcnt(0)
	v_mul_lo_u16_e32 v43, v13, v44
	v_and_b32_e32 v44, 0xff, v43
	v_cndmask_b32_e64 v42, v42, v44, s[10:11]
	ds_bpermute_b32 v44, v35, v42
	v_cndmask_b32_e64 v13, v13, v43, s[10:11]
	s_waitcnt lgkmcnt(0)
	v_mul_lo_u16_e32 v43, v13, v44
	v_and_b32_e32 v44, 0xff, v43
	v_cndmask_b32_e32 v42, v42, v44, vcc
	ds_bpermute_b32 v42, v38, v42
	v_cndmask_b32_e32 v13, v13, v43, vcc
	v_cmp_le_u32_e32 vcc, v39, v12
	s_waitcnt lgkmcnt(0)
	s_nop 0
	v_cndmask_b32_e32 v12, 1, v42, vcc
	v_mul_lo_u16_e32 v12, v13, v12
	s_or_b64 vcc, vcc, s[6:7]
	v_cndmask_b32_e32 v12, v41, v12, vcc
	v_mul_lo_u16_e32 v12, v12, v37
.LBB3_68:                               ; =>This Loop Header: Depth=1
                                        ;     Child Loop BB3_71 Depth 2
	v_cmp_ne_u16_sdwa s[6:7], v26, v40 src0_sel:BYTE_0 src1_sel:DWORD
	v_mov_b32_e32 v37, v12
	s_nop 0
	v_cndmask_b32_e64 v13, 0, 1, s[6:7]
	;;#ASMSTART
	;;#ASMEND
	s_nop 0
	v_cmp_ne_u32_e32 vcc, 0, v13
	s_cmp_lg_u64 vcc, exec
	s_cbranch_scc1 .LBB3_73
; %bb.69:                               ;   in Loop: Header=BB3_68 Depth=1
	v_lshl_add_u64 v[12:13], v[8:9], 1, s[12:13]
	global_load_ushort v41, v[12:13], off sc1
	s_waitcnt vmcnt(0)
	v_lshrrev_b16_e32 v26, 8, v41
	v_cmp_eq_u16_e32 vcc, 0, v26
	s_and_saveexec_b64 s[6:7], vcc
	s_cbranch_execz .LBB3_67
; %bb.70:                               ;   in Loop: Header=BB3_68 Depth=1
	s_mov_b64 s[8:9], 0
.LBB3_71:                               ;   Parent Loop BB3_68 Depth=1
                                        ; =>  This Inner Loop Header: Depth=2
	global_load_ushort v41, v[12:13], off sc1
	s_waitcnt vmcnt(0)
	v_lshrrev_b16_e32 v26, 8, v41
	v_cmp_ne_u16_e32 vcc, 0, v26
	s_or_b64 s[8:9], vcc, s[8:9]
	s_andn2_b64 exec, exec, s[8:9]
	s_cbranch_execnz .LBB3_71
; %bb.72:                               ;   in Loop: Header=BB3_68 Depth=1
	s_or_b64 exec, exec, s[8:9]
	s_branch .LBB3_67
.LBB3_73:                               ;   in Loop: Header=BB3_68 Depth=1
                                        ; implicit-def: $vgpr12
                                        ; implicit-def: $vgpr26
	s_cbranch_execz .LBB3_68
; %bb.74:
	s_and_saveexec_b64 s[6:7], s[4:5]
	s_cbranch_execz .LBB3_76
; %bb.75:
	s_add_i32 s2, s2, 64
	s_mov_b32 s3, 0
	s_lshl_b64 s[2:3], s[2:3], 1
	v_mul_lo_u16_e32 v8, v37, v25
	s_add_u32 s2, s12, s2
	s_movk_i32 s8, 0x200
	s_addc_u32 s3, s13, s3
	v_mov_b32_e32 v9, 0
	v_or_b32_sdwa v8, v8, s8 dst_sel:DWORD dst_unused:UNUSED_PAD src0_sel:BYTE_0 src1_sel:DWORD
	global_store_short v9, v8, s[2:3] sc1
.LBB3_76:
	s_or_b64 exec, exec, s[6:7]
	v_cmp_eq_u32_e32 vcc, 0, v0
	s_and_b64 exec, exec, vcc
	s_cbranch_execz .LBB3_78
; %bb.77:
	v_mov_b32_e32 v8, 0
	ds_write_b8 v8, v37 offset:3
.LBB3_78:
	s_or_b64 exec, exec, s[18:19]
	v_mov_b32_e32 v8, 0
	s_waitcnt lgkmcnt(0)
	s_barrier
	ds_read_u8 v8, v8 offset:3
	v_cndmask_b32_e64 v9, v24, v23, s[4:5]
	v_cmp_ne_u32_e32 vcc, 0, v0
	s_nop 1
	v_cndmask_b32_e32 v9, 1, v9, vcc
	v_mul_lo_u16_e32 v9, v9, v2
	s_waitcnt lgkmcnt(0)
	v_mul_lo_u16_e32 v8, v9, v8
	s_load_dwordx4 s[4:7], s[0:1], 0x30
	s_branch .LBB3_91
.LBB3_79:
                                        ; implicit-def: $vgpr8
	s_load_dwordx4 s[4:7], s[0:1], 0x30
	s_cbranch_execz .LBB3_91
; %bb.80:
	s_load_dword s2, s[0:1], 0x40
	v_cmp_eq_u32_e32 vcc, 0, v0
	v_mov_b32_e32 v8, v2
	s_waitcnt lgkmcnt(0)
	s_bitcmp1_b32 s2, 0
	s_cselect_b64 s[2:3], -1, 0
	s_and_b64 s[8:9], vcc, s[2:3]
	s_and_saveexec_b64 s[2:3], s[8:9]
	s_cbranch_execz .LBB3_82
; %bb.81:
	v_mov_b32_e32 v8, 0
	global_load_ubyte v8, v8, s[4:5]
	s_waitcnt vmcnt(0)
	v_mul_lo_u16_e32 v8, v8, v2
.LBB3_82:
	s_or_b64 exec, exec, s[2:3]
	v_mul_lo_u16_sdwa v9, v2, v19 dst_sel:DWORD dst_unused:UNUSED_PAD src0_sel:WORD_1 src1_sel:DWORD
	v_mul_lo_u16_sdwa v9, v9, v2 dst_sel:DWORD dst_unused:UNUSED_PAD src0_sel:DWORD src1_sel:BYTE_3
	v_mul_lo_u16_e32 v9, v9, v3
	v_mul_lo_u16_e32 v9, v9, v18
	v_mul_lo_u16_sdwa v9, v9, v3 dst_sel:DWORD dst_unused:UNUSED_PAD src0_sel:DWORD src1_sel:WORD_1
	v_mul_lo_u16_sdwa v9, v9, v3 dst_sel:DWORD dst_unused:UNUSED_PAD src0_sel:DWORD src1_sel:BYTE_3
	v_mul_lo_u16_e32 v9, v9, v4
	v_mul_lo_u16_e32 v9, v9, v17
	v_mul_lo_u16_sdwa v9, v9, v4 dst_sel:DWORD dst_unused:UNUSED_PAD src0_sel:DWORD src1_sel:WORD_1
	;; [unrolled: 4-line block ×5, first 2 shown]
	v_mul_lo_u16_sdwa v9, v9, v7 dst_sel:DWORD dst_unused:UNUSED_PAD src0_sel:DWORD src1_sel:BYTE_3
	v_mul_lo_u16_e32 v10, v9, v8
	v_and_b32_e32 v12, 0xff, v10
	v_mbcnt_hi_u32_b32 v9, -1, v22
	v_and_b32_e32 v11, 15, v9
	v_mov_b32_dpp v13, v12 row_shr:1 row_mask:0xf bank_mask:0xf
	v_mul_lo_u16_e32 v13, v10, v13
	v_and_b32_e32 v22, 0xff, v13
	v_cmp_eq_u32_e64 s[2:3], 0, v11
	s_nop 1
	v_cndmask_b32_e64 v12, v22, v12, s[2:3]
	v_cndmask_b32_e64 v10, v13, v10, s[2:3]
	v_cmp_lt_u32_e64 s[2:3], 1, v11
	v_mov_b32_dpp v13, v12 row_shr:2 row_mask:0xf bank_mask:0xf
	v_mul_lo_u16_e32 v13, v10, v13
	v_and_b32_e32 v22, 0xff, v13
	v_cndmask_b32_e64 v12, v12, v22, s[2:3]
	v_cndmask_b32_e64 v10, v10, v13, s[2:3]
	v_cmp_lt_u32_e64 s[2:3], 3, v11
	v_mov_b32_dpp v13, v12 row_shr:4 row_mask:0xf bank_mask:0xf
	v_mul_lo_u16_e32 v13, v10, v13
	v_and_b32_e32 v22, 0xff, v13
	;; [unrolled: 6-line block ×3, first 2 shown]
	v_cndmask_b32_e64 v11, v12, v22, s[2:3]
	v_cndmask_b32_e64 v10, v10, v13, s[2:3]
	v_and_b32_e32 v13, 16, v9
	v_mov_b32_dpp v12, v11 row_bcast:15 row_mask:0xf bank_mask:0xf
	v_mul_lo_u16_e32 v12, v10, v12
	v_and_b32_e32 v22, 0xff, v12
	v_cmp_eq_u32_e64 s[2:3], 0, v13
	s_nop 1
	v_cndmask_b32_e64 v11, v22, v11, s[2:3]
	v_cndmask_b32_e64 v10, v12, v10, s[2:3]
	v_cmp_lt_u32_e64 s[2:3], 31, v9
	v_mov_b32_dpp v11, v11 row_bcast:31 row_mask:0xf bank_mask:0xf
	s_nop 0
	v_cndmask_b32_e64 v11, 1, v11, s[2:3]
	v_mul_lo_u16_e32 v10, v10, v11
	v_cmp_eq_u32_e64 s[2:3], v21, v0
	s_and_saveexec_b64 s[4:5], s[2:3]
	s_cbranch_execz .LBB3_84
; %bb.83:
	ds_write_b8 v20, v10
.LBB3_84:
	s_or_b64 exec, exec, s[4:5]
	v_cmp_gt_u32_e64 s[2:3], 4, v0
	s_waitcnt lgkmcnt(0)
	s_barrier
	s_and_saveexec_b64 s[4:5], s[2:3]
	s_cbranch_execz .LBB3_86
; %bb.85:
	ds_read_u8 v11, v0
	v_and_b32_e32 v12, 3, v9
	v_cmp_eq_u32_e64 s[2:3], 0, v12
	s_waitcnt lgkmcnt(0)
	v_and_b32_e32 v13, 0xff, v11
	s_nop 1
	v_mov_b32_dpp v21, v13 row_shr:1 row_mask:0xf bank_mask:0xf
	v_mul_lo_u16_e32 v21, v11, v21
	v_and_b32_e32 v22, 0xff, v21
	v_cndmask_b32_e64 v13, v22, v13, s[2:3]
	v_cndmask_b32_e64 v11, v21, v11, s[2:3]
	v_cmp_lt_u32_e64 s[2:3], 1, v12
	v_mov_b32_dpp v13, v13 row_shr:2 row_mask:0xf bank_mask:0xf
	s_nop 0
	v_cndmask_b32_e64 v12, 1, v13, s[2:3]
	v_mul_lo_u16_e32 v11, v11, v12
	ds_write_b8 v0, v11
.LBB3_86:
	s_or_b64 exec, exec, s[4:5]
	v_cmp_lt_u32_e64 s[2:3], 63, v0
	s_waitcnt lgkmcnt(0)
	s_barrier
	s_waitcnt lgkmcnt(0)
                                        ; implicit-def: $vgpr11
	s_and_saveexec_b64 s[4:5], s[2:3]
	s_cbranch_execz .LBB3_88
; %bb.87:
	v_add_u32_e32 v11, -1, v20
	ds_read_u8 v11, v11
	s_waitcnt lgkmcnt(0)
	v_mul_lo_u16_e32 v10, v11, v10
.LBB3_88:
	s_or_b64 exec, exec, s[4:5]
	v_add_u32_e32 v12, -1, v9
	v_and_b32_e32 v13, 64, v9
	v_cmp_lt_i32_e64 s[2:3], v12, v13
	v_and_b32_e32 v10, 0xff, v10
	s_nop 0
	v_cndmask_b32_e64 v12, v12, v9, s[2:3]
	v_lshlrev_b32_e32 v12, 2, v12
	ds_bpermute_b32 v10, v12, v10
	v_cmp_eq_u32_e64 s[2:3], 0, v9
	s_waitcnt lgkmcnt(0)
	s_nop 0
	v_cndmask_b32_e64 v9, v10, v11, s[2:3]
	v_cndmask_b32_e64 v9, v9, 1, vcc
	s_and_saveexec_b64 s[2:3], vcc
	s_cbranch_execz .LBB3_90
; %bb.89:
	v_mov_b32_e32 v10, 0
	ds_read_u8 v11, v10 offset:3
	s_waitcnt lgkmcnt(0)
	v_or_b32_e32 v11, 0x200, v11
	global_store_short v10, v11, s[12:13] offset:128 sc1
.LBB3_90:
	s_or_b64 exec, exec, s[2:3]
	v_mul_lo_u16_e32 v8, v9, v8
.LBB3_91:
	v_mul_lo_u16_e32 v19, v8, v19
	v_mul_lo_u16_sdwa v9, v19, v2 dst_sel:DWORD dst_unused:UNUSED_PAD src0_sel:DWORD src1_sel:WORD_1
	v_mul_lo_u16_sdwa v20, v9, v2 dst_sel:DWORD dst_unused:UNUSED_PAD src0_sel:DWORD src1_sel:BYTE_3
	v_mul_lo_u16_e32 v10, v20, v3
	v_mul_lo_u16_e32 v18, v10, v18
	v_mul_lo_u16_sdwa v11, v18, v3 dst_sel:DWORD dst_unused:UNUSED_PAD src0_sel:DWORD src1_sel:WORD_1
	v_mul_lo_u16_sdwa v22, v11, v3 dst_sel:DWORD dst_unused:UNUSED_PAD src0_sel:DWORD src1_sel:BYTE_3
	v_mul_lo_u16_e32 v12, v22, v4
	;; [unrolled: 4-line block ×5, first 2 shown]
	v_mul_lo_u16_e32 v1, v4, v1
	v_mul_lo_u16_sdwa v5, v1, v7 dst_sel:DWORD dst_unused:UNUSED_PAD src0_sel:DWORD src1_sel:WORD_1
	v_mul_lo_u16_sdwa v6, v5, v7 dst_sel:DWORD dst_unused:UNUSED_PAD src0_sel:DWORD src1_sel:BYTE_3
	s_add_u32 s2, s14, s22
	s_addc_u32 s3, s15, 0
	s_waitcnt lgkmcnt(0)
	s_mov_b64 s[4:5], -1
	s_and_b64 vcc, exec, s[16:17]
	v_lshlrev_b16_e32 v25, 8, v23
	v_lshlrev_b16_e32 v26, 8, v26
	;; [unrolled: 1-line block ×12, first 2 shown]
	s_barrier
	s_cbranch_vccz .LBB3_93
; %bb.92:
	v_or_b32_sdwa v1, v17, v25 dst_sel:DWORD dst_unused:UNUSED_PAD src0_sel:BYTE_0 src1_sel:DWORD
	v_or_b32_sdwa v27, v16, v26 dst_sel:WORD_1 dst_unused:UNUSED_PAD src0_sel:BYTE_0 src1_sel:DWORD
	s_mov_b64 s[4:5], 0
	v_or_b32_sdwa v29, v1, v27 dst_sel:DWORD dst_unused:UNUSED_PAD src0_sel:WORD_0 src1_sel:DWORD
	v_or_b32_sdwa v1, v12, v23 dst_sel:DWORD dst_unused:UNUSED_PAD src0_sel:BYTE_0 src1_sel:DWORD
	v_or_b32_sdwa v27, v13, v24 dst_sel:WORD_1 dst_unused:UNUSED_PAD src0_sel:BYTE_0 src1_sel:DWORD
	s_nop 0
	v_or_b32_sdwa v28, v1, v27 dst_sel:DWORD dst_unused:UNUSED_PAD src0_sel:WORD_0 src1_sel:DWORD
	v_or_b32_sdwa v1, v10, v21 dst_sel:DWORD dst_unused:UNUSED_PAD src0_sel:BYTE_0 src1_sel:DWORD
	v_or_b32_sdwa v27, v11, v22 dst_sel:WORD_1 dst_unused:UNUSED_PAD src0_sel:BYTE_0 src1_sel:DWORD
	s_nop 0
	;; [unrolled: 4-line block ×3, first 2 shown]
	v_or_b32_sdwa v30, v1, v27 dst_sel:DWORD dst_unused:UNUSED_PAD src0_sel:WORD_0 src1_sel:DWORD
	v_or_b32_sdwa v1, v4, v15 dst_sel:DWORD dst_unused:UNUSED_PAD src0_sel:BYTE_0 src1_sel:DWORD
	v_or_b32_sdwa v27, v5, v18 dst_sel:WORD_1 dst_unused:UNUSED_PAD src0_sel:BYTE_0 src1_sel:DWORD
	ds_write2_b64 v14, v[30:31], v[28:29] offset1:1
	v_or_b32_sdwa v29, v1, v27 dst_sel:DWORD dst_unused:UNUSED_PAD src0_sel:WORD_0 src1_sel:DWORD
	v_or_b32_sdwa v1, v2, v6 dst_sel:DWORD dst_unused:UNUSED_PAD src0_sel:BYTE_0 src1_sel:DWORD
	v_or_b32_sdwa v27, v3, v7 dst_sel:WORD_1 dst_unused:UNUSED_PAD src0_sel:BYTE_0 src1_sel:DWORD
	s_nop 0
	v_or_b32_sdwa v28, v1, v27 dst_sel:DWORD dst_unused:UNUSED_PAD src0_sel:WORD_0 src1_sel:DWORD
	ds_write_b64 v14, v[28:29] offset:16
	s_waitcnt lgkmcnt(0)
	s_barrier
	ds_read_u8 v27, v0
	ds_read_u8 v30, v0 offset:256
	ds_read_u8 v31, v0 offset:512
	;; [unrolled: 1-line block ×23, first 2 shown]
	v_mov_b32_e32 v1, 0
	v_lshl_add_u64 v[28:29], s[2:3], 0, v[0:1]
	v_add_co_u32_e32 v28, vcc, 0x1000, v28
	s_waitcnt lgkmcnt(14)
	global_store_byte v0, v27, s[2:3]
	global_store_byte v0, v30, s[2:3] offset:256
	global_store_byte v0, v31, s[2:3] offset:512
	;; [unrolled: 1-line block ×9, first 2 shown]
	s_waitcnt lgkmcnt(13)
	global_store_byte v0, v39, s[2:3] offset:2560
	s_waitcnt lgkmcnt(12)
	global_store_byte v0, v40, s[2:3] offset:2816
	;; [unrolled: 2-line block ×6, first 2 shown]
	v_addc_co_u32_e32 v29, vcc, 0, v29, vcc
	s_waitcnt lgkmcnt(7)
	global_store_byte v[28:29], v45, off
	s_waitcnt lgkmcnt(6)
	global_store_byte v[28:29], v46, off offset:256
	s_waitcnt lgkmcnt(5)
	global_store_byte v[28:29], v47, off offset:512
	;; [unrolled: 2-line block ×7, first 2 shown]
.LBB3_93:
	s_andn2_b64 vcc, exec, s[4:5]
	s_cbranch_vccnz .LBB3_150
; %bb.94:
	v_or_b32_sdwa v1, v17, v25 dst_sel:DWORD dst_unused:UNUSED_PAD src0_sel:BYTE_0 src1_sel:DWORD
	v_or_b32_sdwa v16, v16, v26 dst_sel:WORD_1 dst_unused:UNUSED_PAD src0_sel:BYTE_0 src1_sel:DWORD
	v_cmp_gt_u32_e32 vcc, s20, v0
	v_or_b32_sdwa v17, v1, v16 dst_sel:DWORD dst_unused:UNUSED_PAD src0_sel:WORD_0 src1_sel:DWORD
	v_or_b32_sdwa v1, v12, v23 dst_sel:DWORD dst_unused:UNUSED_PAD src0_sel:BYTE_0 src1_sel:DWORD
	v_or_b32_sdwa v12, v13, v24 dst_sel:WORD_1 dst_unused:UNUSED_PAD src0_sel:BYTE_0 src1_sel:DWORD
	s_nop 0
	v_or_b32_sdwa v16, v1, v12 dst_sel:DWORD dst_unused:UNUSED_PAD src0_sel:WORD_0 src1_sel:DWORD
	v_or_b32_sdwa v1, v10, v21 dst_sel:DWORD dst_unused:UNUSED_PAD src0_sel:BYTE_0 src1_sel:DWORD
	v_or_b32_sdwa v10, v11, v22 dst_sel:WORD_1 dst_unused:UNUSED_PAD src0_sel:BYTE_0 src1_sel:DWORD
	s_nop 0
	v_or_b32_sdwa v11, v1, v10 dst_sel:DWORD dst_unused:UNUSED_PAD src0_sel:WORD_0 src1_sel:DWORD
	v_or_b32_sdwa v1, v8, v19 dst_sel:DWORD dst_unused:UNUSED_PAD src0_sel:BYTE_0 src1_sel:DWORD
	v_or_b32_sdwa v8, v9, v20 dst_sel:WORD_1 dst_unused:UNUSED_PAD src0_sel:BYTE_0 src1_sel:DWORD
	s_nop 0
	v_or_b32_sdwa v10, v1, v8 dst_sel:DWORD dst_unused:UNUSED_PAD src0_sel:WORD_0 src1_sel:DWORD
	v_or_b32_sdwa v1, v4, v15 dst_sel:DWORD dst_unused:UNUSED_PAD src0_sel:BYTE_0 src1_sel:DWORD
	v_or_b32_sdwa v4, v5, v18 dst_sel:WORD_1 dst_unused:UNUSED_PAD src0_sel:BYTE_0 src1_sel:DWORD
	ds_write2_b64 v14, v[10:11], v[16:17] offset1:1
	v_or_b32_sdwa v5, v1, v4 dst_sel:DWORD dst_unused:UNUSED_PAD src0_sel:WORD_0 src1_sel:DWORD
	v_or_b32_sdwa v1, v2, v6 dst_sel:DWORD dst_unused:UNUSED_PAD src0_sel:BYTE_0 src1_sel:DWORD
	v_or_b32_sdwa v2, v3, v7 dst_sel:WORD_1 dst_unused:UNUSED_PAD src0_sel:BYTE_0 src1_sel:DWORD
	s_nop 0
	v_or_b32_sdwa v4, v1, v2 dst_sel:DWORD dst_unused:UNUSED_PAD src0_sel:WORD_0 src1_sel:DWORD
	ds_write_b64 v14, v[4:5] offset:16
	s_waitcnt lgkmcnt(0)
	s_barrier
	ds_read_u8 v5, v0
	ds_read_u8 v4, v0 offset:256
	ds_read_u8 v7, v0 offset:512
	;; [unrolled: 1-line block ×23, first 2 shown]
	v_mov_b32_e32 v1, 0
	v_lshl_add_u64 v[2:3], s[2:3], 0, v[0:1]
	s_and_saveexec_b64 s[2:3], vcc
	s_cbranch_execz .LBB3_96
; %bb.95:
	s_waitcnt lgkmcnt(14)
	global_store_byte v[2:3], v5, off
.LBB3_96:
	s_or_b64 exec, exec, s[2:3]
	v_or_b32_e32 v29, 0x100, v0
	v_cmp_gt_u32_e32 vcc, s20, v29
	s_and_saveexec_b64 s[2:3], vcc
	s_cbranch_execz .LBB3_98
; %bb.97:
	s_waitcnt lgkmcnt(14)
	global_store_byte v[2:3], v4, off offset:256
.LBB3_98:
	s_or_b64 exec, exec, s[2:3]
	v_or_b32_e32 v29, 0x200, v0
	v_cmp_gt_u32_e32 vcc, s20, v29
	s_and_saveexec_b64 s[2:3], vcc
	s_cbranch_execz .LBB3_100
; %bb.99:
	s_waitcnt lgkmcnt(14)
	global_store_byte v[2:3], v7, off offset:512
.LBB3_100:
	;; [unrolled: 9-line block ×15, first 2 shown]
	s_or_b64 exec, exec, s[2:3]
	v_or_b32_e32 v29, 0x1000, v0
	v_cmp_gt_u32_e32 vcc, s20, v29
	s_and_saveexec_b64 s[2:3], vcc
	s_cbranch_execz .LBB3_128
; %bb.127:
	v_add_co_u32_e32 v30, vcc, 0x1000, v2
	s_nop 1
	v_addc_co_u32_e32 v31, vcc, 0, v3, vcc
	s_waitcnt lgkmcnt(7)
	global_store_byte v[30:31], v23, off
.LBB3_128:
	s_or_b64 exec, exec, s[2:3]
	v_or_b32_e32 v29, 0x1100, v0
	v_cmp_gt_u32_e32 vcc, s20, v29
	s_and_saveexec_b64 s[2:3], vcc
	s_cbranch_execz .LBB3_130
; %bb.129:
	v_add_co_u32_e32 v30, vcc, 0x1000, v2
	s_nop 1
	v_addc_co_u32_e32 v31, vcc, 0, v3, vcc
	s_waitcnt lgkmcnt(6)
	global_store_byte v[30:31], v26, off offset:256
.LBB3_130:
	s_or_b64 exec, exec, s[2:3]
	v_or_b32_e32 v29, 0x1200, v0
	v_cmp_gt_u32_e32 vcc, s20, v29
	s_and_saveexec_b64 s[2:3], vcc
	s_cbranch_execz .LBB3_132
; %bb.131:
	v_add_co_u32_e32 v30, vcc, 0x1000, v2
	s_nop 1
	v_addc_co_u32_e32 v31, vcc, 0, v3, vcc
	s_waitcnt lgkmcnt(5)
	global_store_byte v[30:31], v25, off offset:512
.LBB3_132:
	;; [unrolled: 12-line block ×7, first 2 shown]
	s_or_b64 exec, exec, s[2:3]
	s_load_dword s0, s[0:1], 0x40
	s_waitcnt lgkmcnt(0)
	s_bfe_u32 s0, s0, 0x10008
	s_cmp_eq_u32 s0, 0
	s_cbranch_scc1 .LBB3_150
; %bb.143:
	s_add_u32 s0, s20, -1
	s_addc_u32 s1, s21, -1
	s_add_u32 s2, 0, 0xaaaa0000
	s_addc_u32 s3, 0, 42
	s_add_i32 s3, s3, 0xaaaaa80
	s_mul_hi_u32 s9, s2, 0xffffffe8
	s_sub_i32 s9, s9, s2
	s_mul_i32 s10, s3, 0xffffffe8
	s_mul_i32 s4, s2, 0xffffffe8
	s_add_i32 s9, s9, s10
	s_mul_hi_u32 s5, s3, s4
	s_mul_i32 s8, s3, s4
	s_mul_i32 s11, s2, s9
	s_mul_hi_u32 s4, s2, s4
	s_mul_hi_u32 s10, s2, s9
	s_add_u32 s4, s4, s11
	s_addc_u32 s10, 0, s10
	s_add_u32 s4, s4, s8
	s_mul_hi_u32 s11, s3, s9
	s_addc_u32 s4, s10, s5
	s_addc_u32 s5, s11, 0
	s_mul_i32 s8, s3, s9
	s_add_u32 s4, s4, s8
	v_mov_b32_e32 v2, s4
	s_addc_u32 s5, 0, s5
	v_add_co_u32_e32 v2, vcc, s2, v2
	s_cmp_lg_u64 vcc, 0
	s_addc_u32 s2, s3, s5
	v_readfirstlane_b32 s5, v2
	s_mul_i32 s4, s0, s2
	s_mul_hi_u32 s8, s0, s5
	s_mul_hi_u32 s3, s0, s2
	s_add_u32 s4, s8, s4
	s_addc_u32 s3, 0, s3
	s_mul_hi_u32 s9, s1, s5
	s_mul_i32 s5, s1, s5
	s_add_u32 s4, s4, s5
	s_mul_hi_u32 s8, s1, s2
	s_addc_u32 s3, s3, s9
	s_addc_u32 s4, s8, 0
	s_mul_i32 s2, s1, s2
	s_add_u32 s2, s3, s2
	s_addc_u32 s3, 0, s4
	s_add_u32 s4, s2, 1
	s_addc_u32 s5, s3, 0
	s_add_u32 s8, s2, 2
	s_mul_i32 s10, s3, 24
	s_mul_hi_u32 s11, s2, 24
	s_addc_u32 s9, s3, 0
	s_add_i32 s11, s11, s10
	s_mul_i32 s10, s2, 24
	v_mov_b32_e32 v2, s10
	v_sub_co_u32_e32 v2, vcc, s0, v2
	s_cmp_lg_u64 vcc, 0
	s_subb_u32 s10, s1, s11
	v_subrev_co_u32_e32 v3, vcc, 24, v2
	s_cmp_lg_u64 vcc, 0
	s_subb_u32 s11, s10, 0
	v_readfirstlane_b32 s12, v3
	s_cmp_gt_u32 s12, 23
	s_cselect_b32 s12, -1, 0
	s_cmp_eq_u32 s11, 0
	s_cselect_b32 s11, s12, -1
	s_cmp_lg_u32 s11, 0
	s_cselect_b32 s4, s8, s4
	v_readfirstlane_b32 s8, v2
	s_cselect_b32 s5, s9, s5
	s_cmp_gt_u32 s8, 23
	s_cselect_b32 s8, -1, 0
	s_cmp_eq_u32 s10, 0
	s_cselect_b32 s8, s8, -1
	s_cmp_lg_u32 s8, 0
	s_cselect_b32 s3, s5, s3
	s_cselect_b32 s2, s4, s2
	v_cmp_eq_u64_e32 vcc, s[2:3], v[0:1]
	s_and_saveexec_b64 s[2:3], vcc
	s_cbranch_execz .LBB3_150
; %bb.144:
	v_mul_hi_u32_u24_e32 v1, 24, v0
	v_mov_b32_e32 v2, s1
	v_sub_co_u32_e32 v0, vcc, s0, v14
	s_mov_b64 s[0:1], 0
	s_nop 0
	v_subb_co_u32_e32 v1, vcc, v2, v1, vcc
	v_cmp_lt_i64_e32 vcc, 11, v[0:1]
	s_mov_b64 s[10:11], 0
	s_mov_b64 s[8:9], 0
	;; [unrolled: 1-line block ×3, first 2 shown]
	s_and_saveexec_b64 s[2:3], vcc
	s_xor_b64 s[2:3], exec, s[2:3]
	s_cbranch_execnz .LBB3_151
; %bb.145:
	s_andn2_saveexec_b64 s[2:3], s[2:3]
	s_cbranch_execnz .LBB3_196
.LBB3_146:
	s_or_b64 exec, exec, s[2:3]
	s_and_saveexec_b64 s[2:3], s[10:11]
	s_cbranch_execnz .LBB3_213
.LBB3_147:
	s_or_b64 exec, exec, s[2:3]
	s_and_saveexec_b64 s[2:3], s[8:9]
	s_cbranch_execnz .LBB3_214
.LBB3_148:
	s_or_b64 exec, exec, s[2:3]
	s_and_saveexec_b64 s[2:3], s[4:5]
	s_xor_b64 s[2:3], exec, s[2:3]
	s_cbranch_execnz .LBB3_215
.LBB3_149:
	s_or_b64 exec, exec, s[2:3]
	s_and_b64 exec, exec, s[0:1]
	s_cbranch_execnz .LBB3_216
.LBB3_150:
	s_endpgm
.LBB3_151:
	v_cmp_lt_i64_e32 vcc, 17, v[0:1]
	s_and_saveexec_b64 s[12:13], vcc
	s_xor_b64 s[12:13], exec, s[12:13]
	s_cbranch_execz .LBB3_173
; %bb.152:
	v_cmp_lt_i64_e32 vcc, 20, v[0:1]
                                        ; implicit-def: $vgpr10
	s_and_saveexec_b64 s[14:15], vcc
	s_xor_b64 s[14:15], exec, s[14:15]
	s_cbranch_execz .LBB3_162
; %bb.153:
	v_cmp_lt_i64_e32 vcc, 21, v[0:1]
	s_mov_b64 s[16:17], 0
                                        ; implicit-def: $vgpr10
	s_and_saveexec_b64 s[4:5], vcc
	s_xor_b64 s[4:5], exec, s[4:5]
	s_cbranch_execz .LBB3_159
; %bb.154:
	v_cmp_lt_i64_e32 vcc, 22, v[0:1]
	s_and_saveexec_b64 s[16:17], vcc
	s_xor_b64 s[16:17], exec, s[16:17]
	s_cbranch_execz .LBB3_156
; %bb.155:
	v_mov_b32_e32 v2, 0
	global_store_byte v2, v28, s[6:7]
                                        ; implicit-def: $vgpr27
.LBB3_156:
	s_or_saveexec_b64 s[16:17], s[16:17]
	s_mov_b64 s[18:19], 0
	s_xor_b64 exec, exec, s[16:17]
; %bb.157:
	s_mov_b64 s[18:19], exec
; %bb.158:
	s_or_b64 exec, exec, s[16:17]
	s_and_b64 s[16:17], s[18:19], exec
	v_mov_b32_e32 v10, v27
                                        ; implicit-def: $vgpr11
.LBB3_159:
	s_andn2_saveexec_b64 s[4:5], s[4:5]
; %bb.160:
	s_mov_b64 s[8:9], exec
                                        ; implicit-def: $vgpr10
; %bb.161:
	s_or_b64 exec, exec, s[4:5]
	s_and_b64 s[4:5], s[16:17], exec
	s_and_b64 s[8:9], s[8:9], exec
                                        ; implicit-def: $vgpr25
                                        ; implicit-def: $vgpr12
                                        ; implicit-def: $vgpr22
.LBB3_162:
	s_andn2_saveexec_b64 s[14:15], s[14:15]
	s_cbranch_execz .LBB3_172
; %bb.163:
	v_cmp_lt_i64_e32 vcc, 18, v[0:1]
	s_mov_b64 s[16:17], 0
	s_and_saveexec_b64 s[10:11], vcc
	s_xor_b64 s[10:11], exec, s[10:11]
	s_cbranch_execz .LBB3_169
; %bb.164:
	v_cmp_lt_i64_e32 vcc, 19, v[0:1]
	s_and_saveexec_b64 s[18:19], vcc
	s_xor_b64 s[18:19], exec, s[18:19]
; %bb.165:
	s_mov_b64 s[16:17], exec
                                        ; implicit-def: $vgpr22
; %bb.166:
	s_andn2_saveexec_b64 s[18:19], s[18:19]
	s_cbranch_execz .LBB3_168
; %bb.167:
	v_mov_b32_e32 v2, 0
	global_store_byte v2, v22, s[6:7]
                                        ; implicit-def: $vgpr12
.LBB3_168:
	s_or_b64 exec, exec, s[18:19]
	s_and_b64 s[16:17], s[16:17], exec
                                        ; implicit-def: $vgpr25
.LBB3_169:
	s_andn2_saveexec_b64 s[10:11], s[10:11]
	s_cbranch_execz .LBB3_171
; %bb.170:
	v_mov_b32_e32 v2, 0
	global_store_byte v2, v25, s[6:7]
                                        ; implicit-def: $vgpr12
.LBB3_171:
	s_or_b64 exec, exec, s[10:11]
	s_and_b64 s[10:11], s[16:17], exec
                                        ; implicit-def: $vgpr10
                                        ; implicit-def: $vgpr11
.LBB3_172:
	s_or_b64 exec, exec, s[14:15]
	s_and_b64 s[4:5], s[4:5], exec
	s_and_b64 s[8:9], s[8:9], exec
	;; [unrolled: 1-line block ×3, first 2 shown]
                                        ; implicit-def: $vgpr19
                                        ; implicit-def: $vgpr13
                                        ; implicit-def: $vgpr15
                                        ; implicit-def: $vgpr23
                                        ; implicit-def: $vgpr26
.LBB3_173:
	s_andn2_saveexec_b64 s[12:13], s[12:13]
	s_cbranch_execz .LBB3_195
; %bb.174:
	v_cmp_lt_i64_e32 vcc, 14, v[0:1]
	s_mov_b64 s[14:15], s[4:5]
	s_and_saveexec_b64 s[16:17], vcc
	s_xor_b64 s[16:17], exec, s[16:17]
	s_cbranch_execz .LBB3_184
; %bb.175:
	v_cmp_lt_i64_e32 vcc, 15, v[0:1]
	s_and_saveexec_b64 s[14:15], vcc
	s_xor_b64 s[14:15], exec, s[14:15]
	s_cbranch_execz .LBB3_181
; %bb.176:
	v_cmp_lt_i64_e32 vcc, 16, v[0:1]
	s_and_saveexec_b64 s[18:19], vcc
	s_xor_b64 s[18:19], exec, s[18:19]
	s_cbranch_execz .LBB3_178
; %bb.177:
	v_mov_b32_e32 v2, 0
	global_store_byte v2, v26, s[6:7]
                                        ; implicit-def: $vgpr23
.LBB3_178:
	s_andn2_saveexec_b64 s[18:19], s[18:19]
	s_cbranch_execz .LBB3_180
; %bb.179:
	v_mov_b32_e32 v2, 0
	global_store_byte v2, v23, s[6:7]
.LBB3_180:
	s_or_b64 exec, exec, s[18:19]
                                        ; implicit-def: $vgpr10
.LBB3_181:
	s_or_saveexec_b64 s[14:15], s[14:15]
	s_mov_b64 s[18:19], s[4:5]
	s_xor_b64 exec, exec, s[14:15]
; %bb.182:
	s_or_b64 s[18:19], s[4:5], exec
; %bb.183:
	s_or_b64 exec, exec, s[14:15]
	s_andn2_b64 s[14:15], s[4:5], exec
	s_and_b64 s[18:19], s[18:19], exec
	s_or_b64 s[14:15], s[14:15], s[18:19]
                                        ; implicit-def: $vgpr19
                                        ; implicit-def: $vgpr13
                                        ; implicit-def: $vgpr15
.LBB3_184:
	s_or_saveexec_b64 s[16:17], s[16:17]
	s_mov_b64 s[18:19], s[8:9]
                                        ; implicit-def: $vgpr11
	s_xor_b64 exec, exec, s[16:17]
	s_cbranch_execz .LBB3_194
; %bb.185:
	v_cmp_lt_i64_e32 vcc, 12, v[0:1]
	s_mov_b64 s[20:21], s[8:9]
	s_mov_b64 s[22:23], s[14:15]
                                        ; implicit-def: $vgpr10
                                        ; implicit-def: $vgpr11
	s_and_saveexec_b64 s[18:19], vcc
	s_xor_b64 s[18:19], exec, s[18:19]
	s_cbranch_execz .LBB3_191
; %bb.186:
	v_cmp_lt_i64_e32 vcc, 13, v[0:1]
	s_mov_b64 s[20:21], s[14:15]
	s_and_saveexec_b64 s[22:23], vcc
	s_xor_b64 s[22:23], exec, s[22:23]
; %bb.187:
	s_or_b64 s[20:21], s[14:15], exec
                                        ; implicit-def: $vgpr13
; %bb.188:
	s_or_saveexec_b64 s[22:23], s[22:23]
	s_mov_b64 s[24:25], s[8:9]
	s_xor_b64 exec, exec, s[22:23]
; %bb.189:
	s_or_b64 s[24:25], s[8:9], exec
                                        ; implicit-def: $vgpr15
; %bb.190:
	s_or_b64 exec, exec, s[22:23]
	s_andn2_b64 s[22:23], s[14:15], exec
	s_and_b64 s[20:21], s[20:21], exec
	s_or_b64 s[22:23], s[22:23], s[20:21]
	s_andn2_b64 s[20:21], s[8:9], exec
	s_and_b64 s[24:25], s[24:25], exec
	s_or_b64 s[20:21], s[20:21], s[24:25]
	v_mov_b32_e32 v10, v15
	v_mov_b32_e32 v11, v13
                                        ; implicit-def: $vgpr19
.LBB3_191:
	s_andn2_saveexec_b64 s[18:19], s[18:19]
; %bb.192:
	s_or_b64 s[20:21], s[20:21], exec
                                        ; implicit-def: $vgpr10
	v_mov_b32_e32 v11, v19
; %bb.193:
	s_or_b64 exec, exec, s[18:19]
	s_andn2_b64 s[14:15], s[14:15], exec
	s_and_b64 s[18:19], s[22:23], exec
	s_or_b64 s[14:15], s[14:15], s[18:19]
	s_andn2_b64 s[18:19], s[8:9], exec
	s_and_b64 s[20:21], s[20:21], exec
	s_or_b64 s[18:19], s[18:19], s[20:21]
.LBB3_194:
	s_or_b64 exec, exec, s[16:17]
	s_andn2_b64 s[4:5], s[4:5], exec
	s_and_b64 s[14:15], s[14:15], exec
	s_or_b64 s[4:5], s[4:5], s[14:15]
	s_andn2_b64 s[8:9], s[8:9], exec
	s_and_b64 s[14:15], s[18:19], exec
	s_or_b64 s[8:9], s[8:9], s[14:15]
                                        ; implicit-def: $vgpr12
.LBB3_195:
	s_or_b64 exec, exec, s[12:13]
	s_and_b64 s[4:5], s[4:5], exec
	s_and_b64 s[8:9], s[8:9], exec
	;; [unrolled: 1-line block ×3, first 2 shown]
                                        ; implicit-def: $vgpr18
                                        ; implicit-def: $vgpr16
                                        ; implicit-def: $vgpr17
                                        ; implicit-def: $vgpr24
                                        ; implicit-def: $vgpr21
                                        ; implicit-def: $vgpr20
	s_andn2_saveexec_b64 s[2:3], s[2:3]
	s_cbranch_execz .LBB3_146
.LBB3_196:
	v_cmp_lt_i64_e32 vcc, 5, v[0:1]
	s_mov_b64 s[14:15], -1
	s_mov_b64 s[12:13], s[10:11]
	s_mov_b64 s[16:17], s[8:9]
	;; [unrolled: 1-line block ×3, first 2 shown]
                                        ; implicit-def: $vgpr10
                                        ; implicit-def: $vgpr11
                                        ; implicit-def: $vgpr12
	s_and_saveexec_b64 s[0:1], vcc
	s_cbranch_execz .LBB3_212
; %bb.197:
	v_cmp_lt_i64_e32 vcc, 8, v[0:1]
	s_mov_b64 s[12:13], s[10:11]
                                        ; implicit-def: $vgpr12
	s_and_saveexec_b64 s[14:15], vcc
	s_xor_b64 s[14:15], exec, s[14:15]
	s_cbranch_execz .LBB3_207
; %bb.198:
	v_cmp_lt_i64_e32 vcc, 9, v[0:1]
	s_and_saveexec_b64 s[12:13], vcc
	s_xor_b64 s[12:13], exec, s[12:13]
	s_cbranch_execz .LBB3_204
; %bb.199:
	v_cmp_lt_i64_e32 vcc, 10, v[0:1]
	s_and_saveexec_b64 s[16:17], vcc
	s_xor_b64 s[16:17], exec, s[16:17]
; %bb.200:
                                        ; implicit-def: $vgpr21
; %bb.201:
	s_andn2_saveexec_b64 s[16:17], s[16:17]
; %bb.202:
	v_mov_b32_e32 v20, v21
; %bb.203:
	s_or_b64 exec, exec, s[16:17]
                                        ; implicit-def: $vgpr24
.LBB3_204:
	s_andn2_saveexec_b64 s[12:13], s[12:13]
; %bb.205:
	v_mov_b32_e32 v20, v24
; %bb.206:
	s_or_b64 exec, exec, s[12:13]
	s_or_b64 s[12:13], s[10:11], exec
	v_mov_b32_e32 v12, v20
                                        ; implicit-def: $vgpr18
                                        ; implicit-def: $vgpr16
                                        ; implicit-def: $vgpr17
.LBB3_207:
	s_or_saveexec_b64 s[14:15], s[14:15]
	s_mov_b64 s[16:17], s[8:9]
	s_mov_b64 s[20:21], s[4:5]
                                        ; implicit-def: $vgpr10
                                        ; implicit-def: $vgpr11
	s_xor_b64 exec, exec, s[14:15]
	s_cbranch_execz .LBB3_211
; %bb.208:
	v_cmp_lt_i64_e32 vcc, 6, v[0:1]
	s_mov_b64 s[20:21], -1
	s_mov_b64 s[18:19], s[12:13]
	s_mov_b64 s[16:17], s[8:9]
	s_and_saveexec_b64 s[22:23], vcc
; %bb.209:
	v_cmp_lt_i64_e32 vcc, 7, v[0:1]
	s_andn2_b64 s[18:19], s[12:13], exec
	s_and_b64 s[24:25], vcc, exec
	s_xor_b64 s[20:21], exec, -1
	s_or_b64 s[16:17], s[8:9], exec
	s_or_b64 s[18:19], s[18:19], s[24:25]
                                        ; implicit-def: $vgpr18
; %bb.210:
	s_or_b64 exec, exec, s[22:23]
	s_andn2_b64 s[22:23], s[4:5], exec
	s_and_b64 s[20:21], s[20:21], exec
	s_or_b64 s[20:21], s[22:23], s[20:21]
	s_andn2_b64 s[22:23], s[8:9], exec
	s_and_b64 s[16:17], s[16:17], exec
	s_andn2_b64 s[12:13], s[12:13], exec
	s_and_b64 s[18:19], s[18:19], exec
	s_or_b64 s[16:17], s[22:23], s[16:17]
	s_or_b64 s[12:13], s[12:13], s[18:19]
	v_mov_b32_e32 v10, v18
	v_mov_b32_e32 v11, v16
	v_mov_b32_e32 v12, v17
.LBB3_211:
	s_or_b64 exec, exec, s[14:15]
	s_andn2_b64 s[18:19], s[4:5], exec
	s_and_b64 s[20:21], s[20:21], exec
	s_or_b64 s[18:19], s[18:19], s[20:21]
	s_andn2_b64 s[20:21], s[8:9], exec
	s_and_b64 s[16:17], s[16:17], exec
	s_or_b64 s[16:17], s[20:21], s[16:17]
	s_andn2_b64 s[20:21], s[10:11], exec
	s_and_b64 s[12:13], s[12:13], exec
	s_xor_b64 s[14:15], exec, -1
	s_or_b64 s[12:13], s[20:21], s[12:13]
.LBB3_212:
	s_or_b64 exec, exec, s[0:1]
	s_and_b64 s[0:1], s[14:15], exec
	s_andn2_b64 s[4:5], s[4:5], exec
	s_and_b64 s[14:15], s[18:19], exec
	s_or_b64 s[4:5], s[4:5], s[14:15]
	s_andn2_b64 s[8:9], s[8:9], exec
	s_and_b64 s[14:15], s[16:17], exec
	s_andn2_b64 s[10:11], s[10:11], exec
	s_and_b64 s[12:13], s[12:13], exec
	s_or_b64 s[8:9], s[8:9], s[14:15]
	s_or_b64 s[10:11], s[10:11], s[12:13]
	s_or_b64 exec, exec, s[2:3]
	s_and_saveexec_b64 s[2:3], s[10:11]
	s_cbranch_execz .LBB3_147
.LBB3_213:
	v_mov_b32_e32 v2, 0
	s_andn2_b64 s[8:9], s[8:9], exec
	global_store_byte v2, v12, s[6:7]
                                        ; implicit-def: $vgpr10
                                        ; implicit-def: $vgpr11
	s_or_b64 exec, exec, s[2:3]
	s_and_saveexec_b64 s[2:3], s[8:9]
	s_cbranch_execz .LBB3_148
.LBB3_214:
	v_mov_b32_e32 v2, 0
	global_store_byte v2, v11, s[6:7]
                                        ; implicit-def: $vgpr10
	s_or_b64 exec, exec, s[2:3]
	s_and_saveexec_b64 s[2:3], s[4:5]
	s_xor_b64 s[2:3], exec, s[2:3]
	s_cbranch_execz .LBB3_149
.LBB3_215:
	v_mov_b32_e32 v2, 0
	global_store_byte v2, v10, s[6:7]
	s_or_b64 exec, exec, s[2:3]
	s_and_b64 exec, exec, s[0:1]
	s_cbranch_execz .LBB3_150
.LBB3_216:
	v_cmp_lt_i64_e32 vcc, 2, v[0:1]
	s_and_saveexec_b64 s[0:1], vcc
	s_xor_b64 s[0:1], exec, s[0:1]
	s_cbranch_execz .LBB3_226
; %bb.217:
	v_cmp_lt_i64_e32 vcc, 3, v[0:1]
	s_and_saveexec_b64 s[2:3], vcc
	s_xor_b64 s[2:3], exec, s[2:3]
	s_cbranch_execz .LBB3_223
; %bb.218:
	v_cmp_lt_i64_e32 vcc, 4, v[0:1]
	s_and_saveexec_b64 s[4:5], vcc
	s_xor_b64 s[4:5], exec, s[4:5]
	s_cbranch_execz .LBB3_220
; %bb.219:
	v_mov_b32_e32 v0, 0
	global_store_byte v0, v9, s[6:7]
                                        ; implicit-def: $vgpr6
.LBB3_220:
	s_andn2_saveexec_b64 s[4:5], s[4:5]
	s_cbranch_execz .LBB3_222
; %bb.221:
	v_mov_b32_e32 v0, 0
	global_store_byte v0, v6, s[6:7]
.LBB3_222:
	s_or_b64 exec, exec, s[4:5]
                                        ; implicit-def: $vgpr8
.LBB3_223:
	s_andn2_saveexec_b64 s[2:3], s[2:3]
	s_cbranch_execz .LBB3_225
; %bb.224:
	v_mov_b32_e32 v0, 0
	global_store_byte v0, v8, s[6:7]
.LBB3_225:
	s_or_b64 exec, exec, s[2:3]
                                        ; implicit-def: $vgpr0_vgpr1
                                        ; implicit-def: $vgpr7
                                        ; implicit-def: $vgpr4
                                        ; implicit-def: $vgpr5
.LBB3_226:
	s_andn2_saveexec_b64 s[0:1], s[0:1]
	s_cbranch_execz .LBB3_150
; %bb.227:
	v_cmp_lt_i64_e32 vcc, 1, v[0:1]
	s_and_saveexec_b64 s[0:1], vcc
	s_xor_b64 s[0:1], exec, s[0:1]
	s_cbranch_execz .LBB3_229
; %bb.228:
	v_mov_b32_e32 v0, 0
	global_store_byte v0, v7, s[6:7]
                                        ; implicit-def: $vgpr4
                                        ; implicit-def: $vgpr0_vgpr1
                                        ; implicit-def: $vgpr5
.LBB3_229:
	s_andn2_saveexec_b64 s[0:1], s[0:1]
	s_cbranch_execz .LBB3_150
; %bb.230:
	v_cmp_ne_u64_e32 vcc, 1, v[0:1]
	s_and_saveexec_b64 s[0:1], vcc
	s_xor_b64 s[0:1], exec, s[0:1]
	s_cbranch_execz .LBB3_232
; %bb.231:
	v_mov_b32_e32 v0, 0
	global_store_byte v0, v5, s[6:7]
                                        ; implicit-def: $vgpr4
.LBB3_232:
	s_andn2_saveexec_b64 s[0:1], s[0:1]
	s_cbranch_execz .LBB3_150
; %bb.233:
	v_mov_b32_e32 v0, 0
	global_store_byte v0, v4, s[6:7]
	s_endpgm
	.section	.rodata,"a",@progbits
	.p2align	6, 0x0
	.amdhsa_kernel _ZN7rocprim17ROCPRIM_304000_NS6detail20lookback_scan_kernelILNS1_25lookback_scan_determinismE0ELb0ENS1_19wrapped_scan_configINS0_14default_configEhEEPKhPhSt10multipliesIhEhhNS1_19lookback_scan_stateIhLb0ELb1EEEEEvT2_T3_mT5_T4_T7_jPT6_SK_bb
		.amdhsa_group_segment_fixed_size 6144
		.amdhsa_private_segment_fixed_size 0
		.amdhsa_kernarg_size 68
		.amdhsa_user_sgpr_count 2
		.amdhsa_user_sgpr_dispatch_ptr 0
		.amdhsa_user_sgpr_queue_ptr 0
		.amdhsa_user_sgpr_kernarg_segment_ptr 1
		.amdhsa_user_sgpr_dispatch_id 0
		.amdhsa_user_sgpr_kernarg_preload_length 0
		.amdhsa_user_sgpr_kernarg_preload_offset 0
		.amdhsa_user_sgpr_private_segment_size 0
		.amdhsa_uses_dynamic_stack 0
		.amdhsa_enable_private_segment 0
		.amdhsa_system_sgpr_workgroup_id_x 1
		.amdhsa_system_sgpr_workgroup_id_y 0
		.amdhsa_system_sgpr_workgroup_id_z 0
		.amdhsa_system_sgpr_workgroup_info 0
		.amdhsa_system_vgpr_workitem_id 0
		.amdhsa_next_free_vgpr 53
		.amdhsa_next_free_sgpr 26
		.amdhsa_accum_offset 56
		.amdhsa_reserve_vcc 1
		.amdhsa_float_round_mode_32 0
		.amdhsa_float_round_mode_16_64 0
		.amdhsa_float_denorm_mode_32 3
		.amdhsa_float_denorm_mode_16_64 3
		.amdhsa_dx10_clamp 1
		.amdhsa_ieee_mode 1
		.amdhsa_fp16_overflow 0
		.amdhsa_tg_split 0
		.amdhsa_exception_fp_ieee_invalid_op 0
		.amdhsa_exception_fp_denorm_src 0
		.amdhsa_exception_fp_ieee_div_zero 0
		.amdhsa_exception_fp_ieee_overflow 0
		.amdhsa_exception_fp_ieee_underflow 0
		.amdhsa_exception_fp_ieee_inexact 0
		.amdhsa_exception_int_div_zero 0
	.end_amdhsa_kernel
	.section	.text._ZN7rocprim17ROCPRIM_304000_NS6detail20lookback_scan_kernelILNS1_25lookback_scan_determinismE0ELb0ENS1_19wrapped_scan_configINS0_14default_configEhEEPKhPhSt10multipliesIhEhhNS1_19lookback_scan_stateIhLb0ELb1EEEEEvT2_T3_mT5_T4_T7_jPT6_SK_bb,"axG",@progbits,_ZN7rocprim17ROCPRIM_304000_NS6detail20lookback_scan_kernelILNS1_25lookback_scan_determinismE0ELb0ENS1_19wrapped_scan_configINS0_14default_configEhEEPKhPhSt10multipliesIhEhhNS1_19lookback_scan_stateIhLb0ELb1EEEEEvT2_T3_mT5_T4_T7_jPT6_SK_bb,comdat
.Lfunc_end3:
	.size	_ZN7rocprim17ROCPRIM_304000_NS6detail20lookback_scan_kernelILNS1_25lookback_scan_determinismE0ELb0ENS1_19wrapped_scan_configINS0_14default_configEhEEPKhPhSt10multipliesIhEhhNS1_19lookback_scan_stateIhLb0ELb1EEEEEvT2_T3_mT5_T4_T7_jPT6_SK_bb, .Lfunc_end3-_ZN7rocprim17ROCPRIM_304000_NS6detail20lookback_scan_kernelILNS1_25lookback_scan_determinismE0ELb0ENS1_19wrapped_scan_configINS0_14default_configEhEEPKhPhSt10multipliesIhEhhNS1_19lookback_scan_stateIhLb0ELb1EEEEEvT2_T3_mT5_T4_T7_jPT6_SK_bb
                                        ; -- End function
	.section	.AMDGPU.csdata,"",@progbits
; Kernel info:
; codeLenInByte = 8540
; NumSgprs: 32
; NumVgprs: 53
; NumAgprs: 0
; TotalNumVgprs: 53
; ScratchSize: 0
; MemoryBound: 0
; FloatMode: 240
; IeeeMode: 1
; LDSByteSize: 6144 bytes/workgroup (compile time only)
; SGPRBlocks: 3
; VGPRBlocks: 6
; NumSGPRsForWavesPerEU: 32
; NumVGPRsForWavesPerEU: 53
; AccumOffset: 56
; Occupancy: 8
; WaveLimiterHint : 1
; COMPUTE_PGM_RSRC2:SCRATCH_EN: 0
; COMPUTE_PGM_RSRC2:USER_SGPR: 2
; COMPUTE_PGM_RSRC2:TRAP_HANDLER: 0
; COMPUTE_PGM_RSRC2:TGID_X_EN: 1
; COMPUTE_PGM_RSRC2:TGID_Y_EN: 0
; COMPUTE_PGM_RSRC2:TGID_Z_EN: 0
; COMPUTE_PGM_RSRC2:TIDIG_COMP_CNT: 0
; COMPUTE_PGM_RSRC3_GFX90A:ACCUM_OFFSET: 13
; COMPUTE_PGM_RSRC3_GFX90A:TG_SPLIT: 0
	.section	.text._ZN7rocprim17ROCPRIM_304000_NS6detail16transform_kernelINS1_24wrapped_transform_configINS0_14default_configEhEEhPhS6_NS0_8identityIhEEEEvT1_mT2_T3_,"axG",@progbits,_ZN7rocprim17ROCPRIM_304000_NS6detail16transform_kernelINS1_24wrapped_transform_configINS0_14default_configEhEEhPhS6_NS0_8identityIhEEEEvT1_mT2_T3_,comdat
	.protected	_ZN7rocprim17ROCPRIM_304000_NS6detail16transform_kernelINS1_24wrapped_transform_configINS0_14default_configEhEEhPhS6_NS0_8identityIhEEEEvT1_mT2_T3_ ; -- Begin function _ZN7rocprim17ROCPRIM_304000_NS6detail16transform_kernelINS1_24wrapped_transform_configINS0_14default_configEhEEhPhS6_NS0_8identityIhEEEEvT1_mT2_T3_
	.globl	_ZN7rocprim17ROCPRIM_304000_NS6detail16transform_kernelINS1_24wrapped_transform_configINS0_14default_configEhEEhPhS6_NS0_8identityIhEEEEvT1_mT2_T3_
	.p2align	8
	.type	_ZN7rocprim17ROCPRIM_304000_NS6detail16transform_kernelINS1_24wrapped_transform_configINS0_14default_configEhEEhPhS6_NS0_8identityIhEEEEvT1_mT2_T3_,@function
_ZN7rocprim17ROCPRIM_304000_NS6detail16transform_kernelINS1_24wrapped_transform_configINS0_14default_configEhEEhPhS6_NS0_8identityIhEEEEvT1_mT2_T3_: ; @_ZN7rocprim17ROCPRIM_304000_NS6detail16transform_kernelINS1_24wrapped_transform_configINS0_14default_configEhEEhPhS6_NS0_8identityIhEEEEvT1_mT2_T3_
; %bb.0:
	s_load_dword s3, s[0:1], 0x20
	s_load_dwordx4 s[4:7], s[0:1], 0x0
	s_load_dwordx2 s[30:31], s[0:1], 0x10
	s_lshl_b32 s33, s2, 12
	v_mov_b32_e32 v1, 0
	s_waitcnt lgkmcnt(0)
	s_add_i32 s3, s3, -1
	s_add_u32 s0, s4, s33
	s_addc_u32 s1, s5, 0
	s_cmp_lg_u32 s2, s3
	v_lshl_add_u64 v[2:3], s[0:1], 0, v[0:1]
	s_cbranch_scc0 .LBB4_2
; %bb.1:
	global_load_ubyte v4, v[2:3], off
	global_load_ubyte v8, v[2:3], off offset:256
	global_load_ubyte v9, v[2:3], off offset:512
	;; [unrolled: 1-line block ×15, first 2 shown]
	s_add_u32 s2, s30, s33
	s_addc_u32 s3, s31, 0
	v_lshl_add_u64 v[6:7], s[2:3], 0, v[0:1]
	s_mov_b64 s[34:35], -1
	s_waitcnt vmcnt(15)
	global_store_byte v[6:7], v4, off
	s_waitcnt vmcnt(15)
	global_store_byte v[6:7], v8, off offset:256
	s_waitcnt vmcnt(15)
	global_store_byte v[6:7], v9, off offset:512
	;; [unrolled: 2-line block ×14, first 2 shown]
	s_cbranch_execz .LBB4_3
	s_branch .LBB4_68
.LBB4_2:
	s_mov_b64 s[34:35], 0
                                        ; implicit-def: $vgpr5
.LBB4_3:
	s_sub_i32 s36, s6, s33
	v_cmp_gt_u32_e32 vcc, s36, v0
                                        ; implicit-def: $vgpr4
	s_and_saveexec_b64 s[0:1], vcc
	s_cbranch_execz .LBB4_5
; %bb.4:
	global_load_ubyte v4, v[2:3], off
.LBB4_5:
	s_or_b64 exec, exec, s[0:1]
	s_waitcnt vmcnt(15)
	v_or_b32_e32 v5, 0x100, v0
	v_cmp_gt_u32_e64 s[0:1], s36, v5
                                        ; implicit-def: $vgpr5
	s_and_saveexec_b64 s[2:3], s[0:1]
	s_cbranch_execz .LBB4_7
; %bb.6:
	global_load_ubyte v5, v[2:3], off offset:256
.LBB4_7:
	s_or_b64 exec, exec, s[2:3]
	v_or_b32_e32 v6, 0x200, v0
	v_cmp_gt_u32_e64 s[2:3], s36, v6
                                        ; implicit-def: $vgpr6
	s_and_saveexec_b64 s[4:5], s[2:3]
	s_cbranch_execz .LBB4_9
; %bb.8:
	global_load_ubyte v6, v[2:3], off offset:512
.LBB4_9:
	s_or_b64 exec, exec, s[4:5]
	v_or_b32_e32 v7, 0x300, v0
	v_cmp_gt_u32_e64 s[4:5], s36, v7
                                        ; implicit-def: $vgpr7
	s_and_saveexec_b64 s[6:7], s[4:5]
	s_cbranch_execz .LBB4_11
; %bb.10:
	global_load_ubyte v7, v[2:3], off offset:768
.LBB4_11:
	s_or_b64 exec, exec, s[6:7]
	v_or_b32_e32 v8, 0x400, v0
	v_cmp_gt_u32_e64 s[6:7], s36, v8
                                        ; implicit-def: $vgpr8
	s_and_saveexec_b64 s[8:9], s[6:7]
	s_cbranch_execz .LBB4_13
; %bb.12:
	global_load_ubyte v8, v[2:3], off offset:1024
.LBB4_13:
	s_or_b64 exec, exec, s[8:9]
	v_or_b32_e32 v9, 0x500, v0
	v_cmp_gt_u32_e64 s[8:9], s36, v9
                                        ; implicit-def: $vgpr9
	s_and_saveexec_b64 s[10:11], s[8:9]
	s_cbranch_execz .LBB4_15
; %bb.14:
	global_load_ubyte v9, v[2:3], off offset:1280
.LBB4_15:
	s_or_b64 exec, exec, s[10:11]
	v_or_b32_e32 v10, 0x600, v0
	v_cmp_gt_u32_e64 s[10:11], s36, v10
                                        ; implicit-def: $vgpr10
	s_and_saveexec_b64 s[12:13], s[10:11]
	s_cbranch_execz .LBB4_17
; %bb.16:
	global_load_ubyte v10, v[2:3], off offset:1536
.LBB4_17:
	s_or_b64 exec, exec, s[12:13]
	v_or_b32_e32 v11, 0x700, v0
	v_cmp_gt_u32_e64 s[12:13], s36, v11
                                        ; implicit-def: $vgpr11
	s_and_saveexec_b64 s[14:15], s[12:13]
	s_cbranch_execz .LBB4_19
; %bb.18:
	global_load_ubyte v11, v[2:3], off offset:1792
.LBB4_19:
	s_or_b64 exec, exec, s[14:15]
	v_or_b32_e32 v12, 0x800, v0
	v_cmp_gt_u32_e64 s[14:15], s36, v12
                                        ; implicit-def: $vgpr12
	s_and_saveexec_b64 s[16:17], s[14:15]
	s_cbranch_execz .LBB4_21
; %bb.20:
	global_load_ubyte v12, v[2:3], off offset:2048
.LBB4_21:
	s_or_b64 exec, exec, s[16:17]
	v_or_b32_e32 v13, 0x900, v0
	v_cmp_gt_u32_e64 s[16:17], s36, v13
                                        ; implicit-def: $vgpr13
	s_and_saveexec_b64 s[18:19], s[16:17]
	s_cbranch_execz .LBB4_23
; %bb.22:
	global_load_ubyte v13, v[2:3], off offset:2304
.LBB4_23:
	s_or_b64 exec, exec, s[18:19]
	v_or_b32_e32 v14, 0xa00, v0
	v_cmp_gt_u32_e64 s[18:19], s36, v14
                                        ; implicit-def: $vgpr14
	s_and_saveexec_b64 s[20:21], s[18:19]
	s_cbranch_execz .LBB4_25
; %bb.24:
	global_load_ubyte v14, v[2:3], off offset:2560
.LBB4_25:
	s_or_b64 exec, exec, s[20:21]
	v_or_b32_e32 v15, 0xb00, v0
	v_cmp_gt_u32_e64 s[20:21], s36, v15
                                        ; implicit-def: $vgpr15
	s_and_saveexec_b64 s[22:23], s[20:21]
	s_cbranch_execz .LBB4_27
; %bb.26:
	global_load_ubyte v15, v[2:3], off offset:2816
.LBB4_27:
	s_or_b64 exec, exec, s[22:23]
	v_or_b32_e32 v16, 0xc00, v0
	v_cmp_gt_u32_e64 s[22:23], s36, v16
                                        ; implicit-def: $vgpr16
	s_and_saveexec_b64 s[24:25], s[22:23]
	s_cbranch_execz .LBB4_29
; %bb.28:
	global_load_ubyte v16, v[2:3], off offset:3072
.LBB4_29:
	s_or_b64 exec, exec, s[24:25]
	v_or_b32_e32 v17, 0xd00, v0
	v_cmp_gt_u32_e64 s[24:25], s36, v17
                                        ; implicit-def: $vgpr17
	s_and_saveexec_b64 s[26:27], s[24:25]
	s_cbranch_execz .LBB4_31
; %bb.30:
	global_load_ubyte v17, v[2:3], off offset:3328
.LBB4_31:
	s_or_b64 exec, exec, s[26:27]
	v_or_b32_e32 v18, 0xe00, v0
	v_cmp_gt_u32_e64 s[26:27], s36, v18
                                        ; implicit-def: $vgpr18
	s_and_saveexec_b64 s[28:29], s[26:27]
	s_cbranch_execz .LBB4_33
; %bb.32:
	global_load_ubyte v18, v[2:3], off offset:3584
.LBB4_33:
	s_or_b64 exec, exec, s[28:29]
	v_or_b32_e32 v19, 0xf00, v0
	v_cmp_gt_u32_e64 s[28:29], s36, v19
                                        ; implicit-def: $vgpr19
	s_and_saveexec_b64 s[36:37], s[28:29]
	s_cbranch_execz .LBB4_35
; %bb.34:
	global_load_ubyte v19, v[2:3], off offset:3840
.LBB4_35:
	s_or_b64 exec, exec, s[36:37]
	s_waitcnt vmcnt(0)
	v_lshlrev_b16_e32 v2, 8, v5
	v_lshlrev_b16_e32 v3, 8, v7
	v_or_b32_sdwa v2, v4, v2 dst_sel:DWORD dst_unused:UNUSED_PAD src0_sel:BYTE_0 src1_sel:DWORD
	v_or_b32_sdwa v3, v6, v3 dst_sel:WORD_1 dst_unused:UNUSED_PAD src0_sel:BYTE_0 src1_sel:DWORD
	s_add_u32 s36, s30, s33
	v_or_b32_sdwa v7, v2, v3 dst_sel:DWORD dst_unused:UNUSED_PAD src0_sel:WORD_0 src1_sel:DWORD
	v_lshlrev_b16_e32 v2, 8, v9
	v_lshlrev_b16_e32 v3, 8, v11
	v_or_b32_sdwa v2, v8, v2 dst_sel:DWORD dst_unused:UNUSED_PAD src0_sel:BYTE_0 src1_sel:DWORD
	v_or_b32_sdwa v3, v10, v3 dst_sel:WORD_1 dst_unused:UNUSED_PAD src0_sel:BYTE_0 src1_sel:DWORD
	s_addc_u32 s37, s31, 0
	v_or_b32_sdwa v6, v2, v3 dst_sel:DWORD dst_unused:UNUSED_PAD src0_sel:WORD_0 src1_sel:DWORD
	v_lshlrev_b16_e32 v2, 8, v13
	v_lshlrev_b16_e32 v3, 8, v15
	v_or_b32_sdwa v2, v12, v2 dst_sel:DWORD dst_unused:UNUSED_PAD src0_sel:BYTE_0 src1_sel:DWORD
	v_or_b32_sdwa v3, v14, v3 dst_sel:WORD_1 dst_unused:UNUSED_PAD src0_sel:BYTE_0 src1_sel:DWORD
	s_nop 0
	v_or_b32_sdwa v5, v2, v3 dst_sel:DWORD dst_unused:UNUSED_PAD src0_sel:WORD_0 src1_sel:DWORD
	v_lshlrev_b16_e32 v2, 8, v17
	v_lshlrev_b16_e32 v3, 8, v19
	v_or_b32_sdwa v2, v16, v2 dst_sel:DWORD dst_unused:UNUSED_PAD src0_sel:BYTE_0 src1_sel:DWORD
	v_or_b32_sdwa v3, v18, v3 dst_sel:WORD_1 dst_unused:UNUSED_PAD src0_sel:BYTE_0 src1_sel:DWORD
	s_nop 0
	v_or_b32_sdwa v4, v2, v3 dst_sel:DWORD dst_unused:UNUSED_PAD src0_sel:WORD_0 src1_sel:DWORD
	v_lshl_add_u64 v[2:3], s[36:37], 0, v[0:1]
	s_and_saveexec_b64 s[36:37], vcc
	s_cbranch_execz .LBB4_37
; %bb.36:
	global_store_byte v[2:3], v7, off
.LBB4_37:
	s_or_b64 exec, exec, s[36:37]
	s_and_saveexec_b64 s[36:37], s[0:1]
	s_cbranch_execz .LBB4_39
; %bb.38:
	v_lshrrev_b32_e32 v8, 8, v7
	global_store_byte v[2:3], v8, off offset:256
.LBB4_39:
	s_or_b64 exec, exec, s[36:37]
	s_mov_b32 s0, 0x7060104
	v_perm_b32 v8, v7, v7, s0
	v_cndmask_b32_e64 v9, v8, v7, s[2:3]
	s_and_saveexec_b64 s[0:1], s[2:3]
	s_cbranch_execz .LBB4_41
; %bb.40:
	global_store_byte_d16_hi v[2:3], v9, off offset:512
.LBB4_41:
	s_or_b64 exec, exec, s[0:1]
	s_mov_b32 s0, 0x7020504
	v_perm_b32 v8, v8, v9, s0
	v_cndmask_b32_e64 v7, v8, v7, s[4:5]
	s_and_saveexec_b64 s[0:1], s[4:5]
	s_cbranch_execz .LBB4_43
; %bb.42:
	v_lshrrev_b32_e32 v7, 24, v7
	global_store_byte v[2:3], v7, off offset:768
.LBB4_43:
	s_or_b64 exec, exec, s[0:1]
	s_and_saveexec_b64 s[0:1], s[6:7]
	s_cbranch_execz .LBB4_45
; %bb.44:
	global_store_byte v[2:3], v6, off offset:1024
.LBB4_45:
	s_or_b64 exec, exec, s[0:1]
	s_mov_b32 s0, 0x3020104
	v_perm_b32 v7, v6, v6, s0
	v_cndmask_b32_e64 v8, v7, v6, s[8:9]
	s_and_saveexec_b64 s[0:1], s[8:9]
	s_cbranch_execz .LBB4_47
; %bb.46:
	v_lshrrev_b32_e32 v9, 8, v8
	global_store_byte v[2:3], v9, off offset:1280
.LBB4_47:
	s_or_b64 exec, exec, s[0:1]
	s_mov_b32 s0, 0x7060104
	v_perm_b32 v7, v7, v8, s0
	v_cndmask_b32_e64 v8, v7, v6, s[10:11]
	s_and_saveexec_b64 s[0:1], s[10:11]
	s_cbranch_execz .LBB4_49
; %bb.48:
	global_store_byte_d16_hi v[2:3], v8, off offset:1536
.LBB4_49:
	s_or_b64 exec, exec, s[0:1]
	s_mov_b32 s0, 0x7020504
	v_perm_b32 v7, v7, v8, s0
	v_cndmask_b32_e64 v6, v7, v6, s[12:13]
	s_and_saveexec_b64 s[0:1], s[12:13]
	s_cbranch_execz .LBB4_51
; %bb.50:
	v_lshrrev_b32_e32 v6, 24, v6
	global_store_byte v[2:3], v6, off offset:1792
.LBB4_51:
	s_or_b64 exec, exec, s[0:1]
	s_and_saveexec_b64 s[0:1], s[14:15]
	s_cbranch_execz .LBB4_53
; %bb.52:
	global_store_byte v[2:3], v5, off offset:2048
.LBB4_53:
	s_or_b64 exec, exec, s[0:1]
	s_mov_b32 s0, 0x3020104
	v_perm_b32 v6, v5, v5, s0
	v_cndmask_b32_e64 v7, v6, v5, s[16:17]
	;; [unrolled: 35-line block ×3, first 2 shown]
	s_and_saveexec_b64 s[0:1], s[24:25]
	s_cbranch_execz .LBB4_63
; %bb.62:
	v_lshrrev_b32_e32 v7, 8, v6
	global_store_byte v[2:3], v7, off offset:3328
.LBB4_63:
	s_or_b64 exec, exec, s[0:1]
	s_mov_b32 s0, 0x7060104
	v_perm_b32 v6, v5, v6, s0
	s_and_saveexec_b64 s[0:1], s[26:27]
	s_cbranch_execz .LBB4_65
; %bb.64:
	v_cndmask_b32_e64 v5, v6, v4, s[26:27]
	global_store_byte_d16_hi v[2:3], v5, off offset:3584
.LBB4_65:
	s_or_b64 exec, exec, s[0:1]
                                        ; implicit-def: $vgpr5
	s_and_saveexec_b64 s[0:1], s[28:29]
; %bb.66:
	v_cndmask_b32_e64 v2, v6, v4, s[28:29]
	v_lshrrev_b32_e32 v5, 24, v2
	s_or_b64 s[34:35], s[34:35], exec
; %bb.67:
	s_or_b64 exec, exec, s[0:1]
.LBB4_68:
	s_and_saveexec_b64 s[0:1], s[34:35]
	s_cbranch_execnz .LBB4_70
; %bb.69:
	s_endpgm
.LBB4_70:
	s_add_u32 s0, s30, s33
	s_addc_u32 s1, s31, 0
	v_lshl_add_u64 v[0:1], s[0:1], 0, v[0:1]
	s_waitcnt vmcnt(15)
	global_store_byte v[0:1], v5, off offset:3840
	s_endpgm
	.section	.rodata,"a",@progbits
	.p2align	6, 0x0
	.amdhsa_kernel _ZN7rocprim17ROCPRIM_304000_NS6detail16transform_kernelINS1_24wrapped_transform_configINS0_14default_configEhEEhPhS6_NS0_8identityIhEEEEvT1_mT2_T3_
		.amdhsa_group_segment_fixed_size 0
		.amdhsa_private_segment_fixed_size 0
		.amdhsa_kernarg_size 288
		.amdhsa_user_sgpr_count 2
		.amdhsa_user_sgpr_dispatch_ptr 0
		.amdhsa_user_sgpr_queue_ptr 0
		.amdhsa_user_sgpr_kernarg_segment_ptr 1
		.amdhsa_user_sgpr_dispatch_id 0
		.amdhsa_user_sgpr_kernarg_preload_length 0
		.amdhsa_user_sgpr_kernarg_preload_offset 0
		.amdhsa_user_sgpr_private_segment_size 0
		.amdhsa_uses_dynamic_stack 0
		.amdhsa_enable_private_segment 0
		.amdhsa_system_sgpr_workgroup_id_x 1
		.amdhsa_system_sgpr_workgroup_id_y 0
		.amdhsa_system_sgpr_workgroup_id_z 0
		.amdhsa_system_sgpr_workgroup_info 0
		.amdhsa_system_vgpr_workitem_id 0
		.amdhsa_next_free_vgpr 22
		.amdhsa_next_free_sgpr 38
		.amdhsa_accum_offset 24
		.amdhsa_reserve_vcc 1
		.amdhsa_float_round_mode_32 0
		.amdhsa_float_round_mode_16_64 0
		.amdhsa_float_denorm_mode_32 3
		.amdhsa_float_denorm_mode_16_64 3
		.amdhsa_dx10_clamp 1
		.amdhsa_ieee_mode 1
		.amdhsa_fp16_overflow 0
		.amdhsa_tg_split 0
		.amdhsa_exception_fp_ieee_invalid_op 0
		.amdhsa_exception_fp_denorm_src 0
		.amdhsa_exception_fp_ieee_div_zero 0
		.amdhsa_exception_fp_ieee_overflow 0
		.amdhsa_exception_fp_ieee_underflow 0
		.amdhsa_exception_fp_ieee_inexact 0
		.amdhsa_exception_int_div_zero 0
	.end_amdhsa_kernel
	.section	.text._ZN7rocprim17ROCPRIM_304000_NS6detail16transform_kernelINS1_24wrapped_transform_configINS0_14default_configEhEEhPhS6_NS0_8identityIhEEEEvT1_mT2_T3_,"axG",@progbits,_ZN7rocprim17ROCPRIM_304000_NS6detail16transform_kernelINS1_24wrapped_transform_configINS0_14default_configEhEEhPhS6_NS0_8identityIhEEEEvT1_mT2_T3_,comdat
.Lfunc_end4:
	.size	_ZN7rocprim17ROCPRIM_304000_NS6detail16transform_kernelINS1_24wrapped_transform_configINS0_14default_configEhEEhPhS6_NS0_8identityIhEEEEvT1_mT2_T3_, .Lfunc_end4-_ZN7rocprim17ROCPRIM_304000_NS6detail16transform_kernelINS1_24wrapped_transform_configINS0_14default_configEhEEhPhS6_NS0_8identityIhEEEEvT1_mT2_T3_
                                        ; -- End function
	.section	.AMDGPU.csdata,"",@progbits
; Kernel info:
; codeLenInByte = 1768
; NumSgprs: 44
; NumVgprs: 22
; NumAgprs: 0
; TotalNumVgprs: 22
; ScratchSize: 0
; MemoryBound: 0
; FloatMode: 240
; IeeeMode: 1
; LDSByteSize: 0 bytes/workgroup (compile time only)
; SGPRBlocks: 5
; VGPRBlocks: 2
; NumSGPRsForWavesPerEU: 44
; NumVGPRsForWavesPerEU: 22
; AccumOffset: 24
; Occupancy: 8
; WaveLimiterHint : 1
; COMPUTE_PGM_RSRC2:SCRATCH_EN: 0
; COMPUTE_PGM_RSRC2:USER_SGPR: 2
; COMPUTE_PGM_RSRC2:TRAP_HANDLER: 0
; COMPUTE_PGM_RSRC2:TGID_X_EN: 1
; COMPUTE_PGM_RSRC2:TGID_Y_EN: 0
; COMPUTE_PGM_RSRC2:TGID_Z_EN: 0
; COMPUTE_PGM_RSRC2:TIDIG_COMP_CNT: 0
; COMPUTE_PGM_RSRC3_GFX90A:ACCUM_OFFSET: 5
; COMPUTE_PGM_RSRC3_GFX90A:TG_SPLIT: 0
	.section	.text._ZN7rocprim17ROCPRIM_304000_NS6detail18single_scan_kernelILb0ENS1_19wrapped_scan_configINS0_14default_configEhEEPKhPhSt10multipliesIhEhhEEvT1_mT4_T2_T3_,"axG",@progbits,_ZN7rocprim17ROCPRIM_304000_NS6detail18single_scan_kernelILb0ENS1_19wrapped_scan_configINS0_14default_configEhEEPKhPhSt10multipliesIhEhhEEvT1_mT4_T2_T3_,comdat
	.protected	_ZN7rocprim17ROCPRIM_304000_NS6detail18single_scan_kernelILb0ENS1_19wrapped_scan_configINS0_14default_configEhEEPKhPhSt10multipliesIhEhhEEvT1_mT4_T2_T3_ ; -- Begin function _ZN7rocprim17ROCPRIM_304000_NS6detail18single_scan_kernelILb0ENS1_19wrapped_scan_configINS0_14default_configEhEEPKhPhSt10multipliesIhEhhEEvT1_mT4_T2_T3_
	.globl	_ZN7rocprim17ROCPRIM_304000_NS6detail18single_scan_kernelILb0ENS1_19wrapped_scan_configINS0_14default_configEhEEPKhPhSt10multipliesIhEhhEEvT1_mT4_T2_T3_
	.p2align	8
	.type	_ZN7rocprim17ROCPRIM_304000_NS6detail18single_scan_kernelILb0ENS1_19wrapped_scan_configINS0_14default_configEhEEPKhPhSt10multipliesIhEhhEEvT1_mT4_T2_T3_,@function
_ZN7rocprim17ROCPRIM_304000_NS6detail18single_scan_kernelILb0ENS1_19wrapped_scan_configINS0_14default_configEhEEPKhPhSt10multipliesIhEhhEEvT1_mT4_T2_T3_: ; @_ZN7rocprim17ROCPRIM_304000_NS6detail18single_scan_kernelILb0ENS1_19wrapped_scan_configINS0_14default_configEhEEPKhPhSt10multipliesIhEhhEEvT1_mT4_T2_T3_
; %bb.0:
	s_load_dwordx4 s[48:51], s[0:1], 0x0
	v_mov_b32_e32 v1, 0
	s_waitcnt lgkmcnt(0)
	global_load_ubyte v4, v1, s[48:49]
	v_lshl_add_u64 v[2:3], s[48:49], 0, v[0:1]
	v_cmp_gt_u32_e64 s[38:39], s50, v0
	s_waitcnt vmcnt(0)
	v_mov_b32_e32 v5, v4
	s_and_saveexec_b64 s[2:3], s[38:39]
	s_cbranch_execz .LBB5_2
; %bb.1:
	global_load_ubyte v5, v[2:3], off
.LBB5_2:
	s_or_b64 exec, exec, s[2:3]
	v_or_b32_e32 v6, 0x100, v0
	v_cmp_gt_u32_e64 s[2:3], s50, v6
	v_mov_b32_e32 v6, v4
	s_and_saveexec_b64 s[4:5], s[2:3]
	s_cbranch_execz .LBB5_4
; %bb.3:
	global_load_ubyte v6, v[2:3], off offset:256
.LBB5_4:
	s_or_b64 exec, exec, s[4:5]
	v_or_b32_e32 v7, 0x200, v0
	v_cmp_gt_u32_e64 s[4:5], s50, v7
	v_mov_b32_e32 v7, v4
	s_and_saveexec_b64 s[6:7], s[4:5]
	s_cbranch_execz .LBB5_6
; %bb.5:
	global_load_ubyte v7, v[2:3], off offset:512
.LBB5_6:
	;; [unrolled: 9-line block ×15, first 2 shown]
	s_or_b64 exec, exec, s[34:35]
	v_or_b32_e32 v21, 0x1000, v0
	v_cmp_gt_u32_e64 s[34:35], s50, v21
	v_mov_b32_e32 v21, v4
	s_and_saveexec_b64 s[36:37], s[34:35]
	s_cbranch_execz .LBB5_34
; %bb.33:
	v_add_co_u32_e32 v22, vcc, 0x1000, v2
	s_nop 1
	v_addc_co_u32_e32 v23, vcc, 0, v3, vcc
	global_load_ubyte v21, v[22:23], off
.LBB5_34:
	s_or_b64 exec, exec, s[36:37]
	v_or_b32_e32 v22, 0x1100, v0
	v_cmp_gt_u32_e64 s[36:37], s50, v22
	v_mov_b32_e32 v22, v4
	s_and_saveexec_b64 s[40:41], s[36:37]
	s_cbranch_execz .LBB5_36
; %bb.35:
	v_add_co_u32_e32 v22, vcc, 0x1000, v2
	s_nop 1
	v_addc_co_u32_e32 v23, vcc, 0, v3, vcc
	global_load_ubyte v22, v[22:23], off offset:256
.LBB5_36:
	s_or_b64 exec, exec, s[40:41]
	v_or_b32_e32 v23, 0x1200, v0
	v_cmp_gt_u32_e64 s[40:41], s50, v23
	v_mov_b32_e32 v23, v4
	s_and_saveexec_b64 s[42:43], s[40:41]
	s_cbranch_execz .LBB5_38
; %bb.37:
	v_add_co_u32_e32 v24, vcc, 0x1000, v2
	s_nop 1
	v_addc_co_u32_e32 v25, vcc, 0, v3, vcc
	global_load_ubyte v23, v[24:25], off offset:512
.LBB5_38:
	;; [unrolled: 12-line block ×6, first 2 shown]
	s_or_b64 exec, exec, s[52:53]
	v_or_b32_e32 v28, 0x1700, v0
	v_cmp_gt_u32_e64 s[50:51], s50, v28
	s_and_saveexec_b64 s[52:53], s[50:51]
	s_cbranch_execz .LBB5_48
; %bb.47:
	v_add_co_u32_e32 v2, vcc, 0x1000, v2
	s_nop 1
	v_addc_co_u32_e32 v3, vcc, 0, v3, vcc
	global_load_ubyte v4, v[2:3], off offset:1792
.LBB5_48:
	s_or_b64 exec, exec, s[52:53]
	s_waitcnt vmcnt(0)
	ds_write_b8 v0, v5
	ds_write_b8 v0, v6 offset:256
	ds_write_b8 v0, v7 offset:512
	;; [unrolled: 1-line block ×23, first 2 shown]
	v_mad_u32_u24 v6, v0, 23, v0
	s_waitcnt lgkmcnt(0)
	s_barrier
	ds_read2_b64 v[2:5], v6 offset1:1
	ds_read_b64 v[6:7], v6 offset:16
	s_waitcnt lgkmcnt(0)
	s_barrier
	v_lshrrev_b32_e32 v13, 8, v2
	v_mul_lo_u16_e32 v14, v13, v2
	v_mul_lo_u16_sdwa v14, v14, v2 dst_sel:DWORD dst_unused:UNUSED_PAD src0_sel:DWORD src1_sel:WORD_1
	v_mul_lo_u16_sdwa v14, v14, v2 dst_sel:DWORD dst_unused:UNUSED_PAD src0_sel:DWORD src1_sel:BYTE_3
	v_lshrrev_b32_e32 v12, 8, v3
	v_mul_lo_u16_e32 v14, v14, v3
	v_mul_lo_u16_e32 v14, v14, v12
	v_mul_lo_u16_sdwa v14, v14, v3 dst_sel:DWORD dst_unused:UNUSED_PAD src0_sel:DWORD src1_sel:WORD_1
	v_mul_lo_u16_sdwa v14, v14, v3 dst_sel:DWORD dst_unused:UNUSED_PAD src0_sel:DWORD src1_sel:BYTE_3
	v_lshrrev_b32_e32 v11, 8, v4
	v_mul_lo_u16_e32 v14, v14, v4
	;; [unrolled: 5-line block ×5, first 2 shown]
	v_mul_lo_u16_e32 v14, v14, v8
	v_mul_lo_u16_sdwa v14, v14, v7 dst_sel:DWORD dst_unused:UNUSED_PAD src0_sel:DWORD src1_sel:WORD_1
	v_mul_lo_u16_sdwa v15, v14, v7 dst_sel:DWORD dst_unused:UNUSED_PAD src0_sel:DWORD src1_sel:BYTE_3
	v_mbcnt_lo_u32_b32 v14, -1, 0
	v_and_b32_e32 v17, 0xff, v15
	v_mbcnt_hi_u32_b32 v14, -1, v14
	v_and_b32_e32 v16, 15, v14
	v_mov_b32_dpp v18, v17 row_shr:1 row_mask:0xf bank_mask:0xf
	v_mul_lo_u16_e32 v18, v15, v18
	v_and_b32_e32 v19, 0xff, v18
	v_cmp_eq_u32_e32 vcc, 0, v16
	s_nop 1
	v_cndmask_b32_e32 v17, v19, v17, vcc
	v_cndmask_b32_e32 v15, v18, v15, vcc
	v_cmp_lt_u32_e32 vcc, 1, v16
	v_mov_b32_dpp v18, v17 row_shr:2 row_mask:0xf bank_mask:0xf
	v_mul_lo_u16_e32 v18, v15, v18
	v_and_b32_e32 v19, 0xff, v18
	v_cndmask_b32_e32 v17, v17, v19, vcc
	v_cndmask_b32_e32 v15, v15, v18, vcc
	v_cmp_lt_u32_e32 vcc, 3, v16
	v_mov_b32_dpp v18, v17 row_shr:4 row_mask:0xf bank_mask:0xf
	v_mul_lo_u16_e32 v18, v15, v18
	v_and_b32_e32 v19, 0xff, v18
	;; [unrolled: 6-line block ×3, first 2 shown]
	v_cndmask_b32_e32 v16, v17, v19, vcc
	v_cndmask_b32_e32 v15, v15, v18, vcc
	v_and_b32_e32 v18, 16, v14
	v_mov_b32_dpp v17, v16 row_bcast:15 row_mask:0xf bank_mask:0xf
	v_mul_lo_u16_e32 v17, v15, v17
	v_and_b32_e32 v19, 0xff, v17
	v_cmp_eq_u32_e32 vcc, 0, v18
	s_nop 1
	v_cndmask_b32_e32 v16, v19, v16, vcc
	v_cndmask_b32_e32 v15, v17, v15, vcc
	v_cmp_lt_u32_e32 vcc, 31, v14
	v_mov_b32_dpp v16, v16 row_bcast:31 row_mask:0xf bank_mask:0xf
	v_lshrrev_b32_e32 v17, 6, v0
	v_cndmask_b32_e32 v16, 1, v16, vcc
	v_mul_lo_u16_e32 v15, v15, v16
	v_or_b32_e32 v16, 63, v0
	v_cmp_eq_u32_e32 vcc, v16, v0
	s_and_saveexec_b64 s[52:53], vcc
	s_cbranch_execz .LBB5_50
; %bb.49:
	ds_write_b8 v17, v15
.LBB5_50:
	s_or_b64 exec, exec, s[52:53]
	v_cmp_gt_u32_e32 vcc, 4, v0
	s_waitcnt lgkmcnt(0)
	s_barrier
	s_and_saveexec_b64 s[52:53], vcc
	s_cbranch_execz .LBB5_52
; %bb.51:
	ds_read_u8 v16, v0
	v_and_b32_e32 v18, 3, v14
	v_cmp_eq_u32_e32 vcc, 0, v18
	s_waitcnt lgkmcnt(0)
	v_and_b32_e32 v19, 0xff, v16
	s_nop 1
	v_mov_b32_dpp v20, v19 row_shr:1 row_mask:0xf bank_mask:0xf
	v_mul_lo_u16_e32 v20, v16, v20
	v_and_b32_e32 v21, 0xff, v20
	v_cndmask_b32_e32 v19, v21, v19, vcc
	v_cndmask_b32_e32 v16, v20, v16, vcc
	v_cmp_lt_u32_e32 vcc, 1, v18
	v_mov_b32_dpp v19, v19 row_shr:2 row_mask:0xf bank_mask:0xf
	s_nop 0
	v_cndmask_b32_e32 v18, 1, v19, vcc
	v_mul_lo_u16_e32 v16, v16, v18
	ds_write_b8 v0, v16
.LBB5_52:
	s_or_b64 exec, exec, s[52:53]
	v_mul_u32_u24_e32 v16, 23, v0
	v_cmp_lt_u32_e32 vcc, 63, v0
	s_waitcnt lgkmcnt(0)
	s_barrier
	s_waitcnt lgkmcnt(0)
                                        ; implicit-def: $vgpr18
	s_and_saveexec_b64 s[52:53], vcc
	s_cbranch_execz .LBB5_54
; %bb.53:
	v_add_u32_e32 v17, -1, v17
	ds_read_u8 v18, v17
	s_waitcnt lgkmcnt(0)
	v_mul_lo_u16_e32 v15, v18, v15
.LBB5_54:
	s_or_b64 exec, exec, s[52:53]
	v_add_u32_e32 v17, -1, v14
	v_and_b32_e32 v19, 64, v14
	v_cmp_lt_i32_e32 vcc, v17, v19
	v_and_b32_e32 v15, 0xff, v15
	v_add_u32_e32 v16, v0, v16
	v_cndmask_b32_e32 v17, v17, v14, vcc
	v_lshlrev_b32_e32 v17, 2, v17
	ds_bpermute_b32 v15, v17, v15
	v_cmp_eq_u32_e32 vcc, 0, v14
	s_waitcnt lgkmcnt(0)
	s_barrier
	v_cndmask_b32_e32 v14, v15, v18, vcc
	v_cmp_ne_u32_e32 vcc, 0, v0
	s_load_dwordx2 s[0:1], s[0:1], 0x18
	s_nop 0
	v_cndmask_b32_e32 v14, 1, v14, vcc
	v_mul_lo_u16_e32 v14, v14, v2
	v_mul_lo_u16_e32 v13, v14, v13
	v_mul_lo_u16_sdwa v15, v13, v2 dst_sel:DWORD dst_unused:UNUSED_PAD src0_sel:DWORD src1_sel:WORD_1
	v_mul_lo_u16_sdwa v2, v15, v2 dst_sel:DWORD dst_unused:UNUSED_PAD src0_sel:DWORD src1_sel:BYTE_3
	v_mul_lo_u16_e32 v17, v2, v3
	v_mul_lo_u16_e32 v12, v17, v12
	v_mul_lo_u16_sdwa v18, v12, v3 dst_sel:DWORD dst_unused:UNUSED_PAD src0_sel:DWORD src1_sel:WORD_1
	v_mul_lo_u16_sdwa v3, v18, v3 dst_sel:DWORD dst_unused:UNUSED_PAD src0_sel:DWORD src1_sel:BYTE_3
	;; [unrolled: 4-line block ×5, first 2 shown]
	v_lshlrev_b16_e32 v13, 8, v13
	v_lshlrev_b16_e32 v2, 8, v2
	;; [unrolled: 1-line block ×8, first 2 shown]
	v_mul_lo_u16_e32 v25, v6, v7
	v_or_b32_sdwa v13, v14, v13 dst_sel:DWORD dst_unused:UNUSED_PAD src0_sel:BYTE_0 src1_sel:DWORD
	v_or_b32_sdwa v2, v15, v2 dst_sel:WORD_1 dst_unused:UNUSED_PAD src0_sel:BYTE_0 src1_sel:DWORD
	v_or_b32_sdwa v12, v17, v12 dst_sel:DWORD dst_unused:UNUSED_PAD src0_sel:BYTE_0 src1_sel:DWORD
	v_or_b32_sdwa v3, v18, v3 dst_sel:WORD_1 dst_unused:UNUSED_PAD src0_sel:BYTE_0 src1_sel:DWORD
	;; [unrolled: 2-line block ×4, first 2 shown]
	v_mul_lo_u16_e32 v8, v25, v8
	v_or_b32_sdwa v2, v13, v2 dst_sel:DWORD dst_unused:UNUSED_PAD src0_sel:WORD_0 src1_sel:DWORD
	v_or_b32_sdwa v3, v12, v3 dst_sel:DWORD dst_unused:UNUSED_PAD src0_sel:WORD_0 src1_sel:DWORD
	;; [unrolled: 1-line block ×4, first 2 shown]
	v_mul_lo_u16_sdwa v26, v8, v7 dst_sel:DWORD dst_unused:UNUSED_PAD src0_sel:DWORD src1_sel:WORD_1
	ds_write2_b64 v16, v[2:3], v[4:5] offset1:1
	v_lshlrev_b16_e32 v2, 8, v9
	v_lshlrev_b16_e32 v3, 8, v6
	v_mul_lo_u16_sdwa v7, v26, v7 dst_sel:DWORD dst_unused:UNUSED_PAD src0_sel:DWORD src1_sel:BYTE_3
	v_or_b32_sdwa v2, v23, v2 dst_sel:DWORD dst_unused:UNUSED_PAD src0_sel:BYTE_0 src1_sel:DWORD
	v_or_b32_sdwa v3, v24, v3 dst_sel:WORD_1 dst_unused:UNUSED_PAD src0_sel:BYTE_0 src1_sel:DWORD
	v_lshlrev_b16_e32 v4, 8, v7
	v_or_b32_sdwa v2, v2, v3 dst_sel:DWORD dst_unused:UNUSED_PAD src0_sel:WORD_0 src1_sel:DWORD
	v_lshlrev_b16_e32 v3, 8, v8
	v_or_b32_sdwa v3, v25, v3 dst_sel:DWORD dst_unused:UNUSED_PAD src0_sel:BYTE_0 src1_sel:DWORD
	v_or_b32_sdwa v4, v26, v4 dst_sel:WORD_1 dst_unused:UNUSED_PAD src0_sel:BYTE_0 src1_sel:DWORD
	s_nop 0
	v_or_b32_sdwa v3, v3, v4 dst_sel:DWORD dst_unused:UNUSED_PAD src0_sel:WORD_0 src1_sel:DWORD
	ds_write_b64 v16, v[2:3] offset:16
	s_waitcnt lgkmcnt(0)
	s_barrier
	ds_read_u8 v26, v0 offset:256
	ds_read_u8 v25, v0 offset:512
	;; [unrolled: 1-line block ×23, first 2 shown]
	v_lshl_add_u64 v[2:3], s[0:1], 0, v[0:1]
	s_and_saveexec_b64 s[0:1], s[38:39]
	s_cbranch_execnz .LBB5_79
; %bb.55:
	s_or_b64 exec, exec, s[0:1]
	s_and_saveexec_b64 s[0:1], s[2:3]
	s_cbranch_execnz .LBB5_80
.LBB5_56:
	s_or_b64 exec, exec, s[0:1]
	s_and_saveexec_b64 s[0:1], s[4:5]
	s_cbranch_execnz .LBB5_81
.LBB5_57:
	s_or_b64 exec, exec, s[0:1]
	s_and_saveexec_b64 s[0:1], s[6:7]
	s_cbranch_execnz .LBB5_82
.LBB5_58:
	s_or_b64 exec, exec, s[0:1]
	s_and_saveexec_b64 s[0:1], s[8:9]
	s_cbranch_execnz .LBB5_83
.LBB5_59:
	s_or_b64 exec, exec, s[0:1]
	s_and_saveexec_b64 s[0:1], s[10:11]
	s_cbranch_execnz .LBB5_84
.LBB5_60:
	s_or_b64 exec, exec, s[0:1]
	s_and_saveexec_b64 s[0:1], s[12:13]
	s_cbranch_execnz .LBB5_85
.LBB5_61:
	s_or_b64 exec, exec, s[0:1]
	s_and_saveexec_b64 s[0:1], s[14:15]
	s_cbranch_execnz .LBB5_86
.LBB5_62:
	s_or_b64 exec, exec, s[0:1]
	s_and_saveexec_b64 s[0:1], s[16:17]
	s_cbranch_execnz .LBB5_87
.LBB5_63:
	s_or_b64 exec, exec, s[0:1]
	s_and_saveexec_b64 s[0:1], s[18:19]
	s_cbranch_execnz .LBB5_88
.LBB5_64:
	s_or_b64 exec, exec, s[0:1]
	s_and_saveexec_b64 s[0:1], s[20:21]
	s_cbranch_execnz .LBB5_89
.LBB5_65:
	s_or_b64 exec, exec, s[0:1]
	s_and_saveexec_b64 s[0:1], s[22:23]
	s_cbranch_execnz .LBB5_90
.LBB5_66:
	s_or_b64 exec, exec, s[0:1]
	s_and_saveexec_b64 s[0:1], s[24:25]
	s_cbranch_execnz .LBB5_91
.LBB5_67:
	s_or_b64 exec, exec, s[0:1]
	s_and_saveexec_b64 s[0:1], s[26:27]
	s_cbranch_execnz .LBB5_92
.LBB5_68:
	s_or_b64 exec, exec, s[0:1]
	s_and_saveexec_b64 s[0:1], s[28:29]
	s_cbranch_execnz .LBB5_93
.LBB5_69:
	s_or_b64 exec, exec, s[0:1]
	s_and_saveexec_b64 s[0:1], s[30:31]
	s_cbranch_execnz .LBB5_94
.LBB5_70:
	s_or_b64 exec, exec, s[0:1]
	s_and_saveexec_b64 s[0:1], s[34:35]
	s_cbranch_execnz .LBB5_95
.LBB5_71:
	s_or_b64 exec, exec, s[0:1]
	s_and_saveexec_b64 s[0:1], s[36:37]
	s_cbranch_execnz .LBB5_96
.LBB5_72:
	s_or_b64 exec, exec, s[0:1]
	s_and_saveexec_b64 s[0:1], s[40:41]
	s_cbranch_execnz .LBB5_97
.LBB5_73:
	s_or_b64 exec, exec, s[0:1]
	s_and_saveexec_b64 s[0:1], s[42:43]
	s_cbranch_execnz .LBB5_98
.LBB5_74:
	s_or_b64 exec, exec, s[0:1]
	s_and_saveexec_b64 s[0:1], s[44:45]
	s_cbranch_execnz .LBB5_99
.LBB5_75:
	s_or_b64 exec, exec, s[0:1]
	s_and_saveexec_b64 s[0:1], s[46:47]
	s_cbranch_execnz .LBB5_100
.LBB5_76:
	s_or_b64 exec, exec, s[0:1]
	s_and_saveexec_b64 s[0:1], s[48:49]
	s_cbranch_execnz .LBB5_101
.LBB5_77:
	s_or_b64 exec, exec, s[0:1]
	s_and_saveexec_b64 s[0:1], s[50:51]
	s_cbranch_execnz .LBB5_102
.LBB5_78:
	s_endpgm
.LBB5_79:
	ds_read_u8 v0, v0
	s_waitcnt lgkmcnt(0)
	global_store_byte v[2:3], v0, off
	s_or_b64 exec, exec, s[0:1]
	s_and_saveexec_b64 s[0:1], s[2:3]
	s_cbranch_execz .LBB5_56
.LBB5_80:
	s_waitcnt lgkmcnt(14)
	global_store_byte v[2:3], v26, off offset:256
	s_or_b64 exec, exec, s[0:1]
	s_and_saveexec_b64 s[0:1], s[4:5]
	s_cbranch_execz .LBB5_57
.LBB5_81:
	s_waitcnt lgkmcnt(14)
	global_store_byte v[2:3], v25, off offset:512
	s_or_b64 exec, exec, s[0:1]
	s_and_saveexec_b64 s[0:1], s[6:7]
	s_cbranch_execz .LBB5_58
.LBB5_82:
	s_waitcnt lgkmcnt(14)
	global_store_byte v[2:3], v24, off offset:768
	s_or_b64 exec, exec, s[0:1]
	s_and_saveexec_b64 s[0:1], s[8:9]
	s_cbranch_execz .LBB5_59
.LBB5_83:
	s_waitcnt lgkmcnt(14)
	global_store_byte v[2:3], v23, off offset:1024
	s_or_b64 exec, exec, s[0:1]
	s_and_saveexec_b64 s[0:1], s[10:11]
	s_cbranch_execz .LBB5_60
.LBB5_84:
	s_waitcnt lgkmcnt(14)
	global_store_byte v[2:3], v22, off offset:1280
	s_or_b64 exec, exec, s[0:1]
	s_and_saveexec_b64 s[0:1], s[12:13]
	s_cbranch_execz .LBB5_61
.LBB5_85:
	s_waitcnt lgkmcnt(14)
	global_store_byte v[2:3], v21, off offset:1536
	s_or_b64 exec, exec, s[0:1]
	s_and_saveexec_b64 s[0:1], s[14:15]
	s_cbranch_execz .LBB5_62
.LBB5_86:
	s_waitcnt lgkmcnt(14)
	global_store_byte v[2:3], v20, off offset:1792
	s_or_b64 exec, exec, s[0:1]
	s_and_saveexec_b64 s[0:1], s[16:17]
	s_cbranch_execz .LBB5_63
.LBB5_87:
	s_waitcnt lgkmcnt(14)
	global_store_byte v[2:3], v19, off offset:2048
	s_or_b64 exec, exec, s[0:1]
	s_and_saveexec_b64 s[0:1], s[18:19]
	s_cbranch_execz .LBB5_64
.LBB5_88:
	s_waitcnt lgkmcnt(14)
	global_store_byte v[2:3], v18, off offset:2304
	s_or_b64 exec, exec, s[0:1]
	s_and_saveexec_b64 s[0:1], s[20:21]
	s_cbranch_execz .LBB5_65
.LBB5_89:
	s_waitcnt lgkmcnt(13)
	global_store_byte v[2:3], v17, off offset:2560
	s_or_b64 exec, exec, s[0:1]
	s_and_saveexec_b64 s[0:1], s[22:23]
	s_cbranch_execz .LBB5_66
.LBB5_90:
	s_waitcnt lgkmcnt(12)
	global_store_byte v[2:3], v16, off offset:2816
	s_or_b64 exec, exec, s[0:1]
	s_and_saveexec_b64 s[0:1], s[24:25]
	s_cbranch_execz .LBB5_67
.LBB5_91:
	s_waitcnt lgkmcnt(11)
	global_store_byte v[2:3], v15, off offset:3072
	s_or_b64 exec, exec, s[0:1]
	s_and_saveexec_b64 s[0:1], s[26:27]
	s_cbranch_execz .LBB5_68
.LBB5_92:
	s_waitcnt lgkmcnt(10)
	global_store_byte v[2:3], v14, off offset:3328
	s_or_b64 exec, exec, s[0:1]
	s_and_saveexec_b64 s[0:1], s[28:29]
	s_cbranch_execz .LBB5_69
.LBB5_93:
	s_waitcnt lgkmcnt(9)
	global_store_byte v[2:3], v13, off offset:3584
	s_or_b64 exec, exec, s[0:1]
	s_and_saveexec_b64 s[0:1], s[30:31]
	s_cbranch_execz .LBB5_70
.LBB5_94:
	s_waitcnt lgkmcnt(8)
	global_store_byte v[2:3], v12, off offset:3840
	s_or_b64 exec, exec, s[0:1]
	s_and_saveexec_b64 s[0:1], s[34:35]
	s_cbranch_execz .LBB5_71
.LBB5_95:
	v_add_co_u32_e32 v0, vcc, 0x1000, v2
	s_nop 1
	v_addc_co_u32_e32 v1, vcc, 0, v3, vcc
	s_waitcnt lgkmcnt(7)
	global_store_byte v[0:1], v11, off
	s_or_b64 exec, exec, s[0:1]
	s_and_saveexec_b64 s[0:1], s[36:37]
	s_cbranch_execz .LBB5_72
.LBB5_96:
	v_add_co_u32_e32 v0, vcc, 0x1000, v2
	s_nop 1
	v_addc_co_u32_e32 v1, vcc, 0, v3, vcc
	s_waitcnt lgkmcnt(6)
	global_store_byte v[0:1], v10, off offset:256
	s_or_b64 exec, exec, s[0:1]
	s_and_saveexec_b64 s[0:1], s[40:41]
	s_cbranch_execz .LBB5_73
.LBB5_97:
	v_add_co_u32_e32 v0, vcc, 0x1000, v2
	s_nop 1
	v_addc_co_u32_e32 v1, vcc, 0, v3, vcc
	s_waitcnt lgkmcnt(5)
	global_store_byte v[0:1], v9, off offset:512
	s_or_b64 exec, exec, s[0:1]
	s_and_saveexec_b64 s[0:1], s[42:43]
	s_cbranch_execz .LBB5_74
.LBB5_98:
	v_add_co_u32_e32 v0, vcc, 0x1000, v2
	s_nop 1
	v_addc_co_u32_e32 v1, vcc, 0, v3, vcc
	s_waitcnt lgkmcnt(4)
	global_store_byte v[0:1], v8, off offset:768
	s_or_b64 exec, exec, s[0:1]
	s_and_saveexec_b64 s[0:1], s[44:45]
	s_cbranch_execz .LBB5_75
.LBB5_99:
	v_add_co_u32_e32 v0, vcc, 0x1000, v2
	s_nop 1
	v_addc_co_u32_e32 v1, vcc, 0, v3, vcc
	s_waitcnt lgkmcnt(3)
	global_store_byte v[0:1], v7, off offset:1024
	s_or_b64 exec, exec, s[0:1]
	s_and_saveexec_b64 s[0:1], s[46:47]
	s_cbranch_execz .LBB5_76
.LBB5_100:
	v_add_co_u32_e32 v0, vcc, 0x1000, v2
	s_nop 1
	v_addc_co_u32_e32 v1, vcc, 0, v3, vcc
	s_waitcnt lgkmcnt(2)
	global_store_byte v[0:1], v6, off offset:1280
	s_or_b64 exec, exec, s[0:1]
	s_and_saveexec_b64 s[0:1], s[48:49]
	s_cbranch_execz .LBB5_77
.LBB5_101:
	v_add_co_u32_e32 v0, vcc, 0x1000, v2
	s_nop 1
	v_addc_co_u32_e32 v1, vcc, 0, v3, vcc
	s_waitcnt lgkmcnt(1)
	global_store_byte v[0:1], v5, off offset:1536
	s_or_b64 exec, exec, s[0:1]
	s_and_saveexec_b64 s[0:1], s[50:51]
	s_cbranch_execz .LBB5_78
.LBB5_102:
	v_add_co_u32_e32 v0, vcc, 0x1000, v2
	s_nop 1
	v_addc_co_u32_e32 v1, vcc, 0, v3, vcc
	s_waitcnt lgkmcnt(0)
	global_store_byte v[0:1], v4, off offset:1792
	s_endpgm
	.section	.rodata,"a",@progbits
	.p2align	6, 0x0
	.amdhsa_kernel _ZN7rocprim17ROCPRIM_304000_NS6detail18single_scan_kernelILb0ENS1_19wrapped_scan_configINS0_14default_configEhEEPKhPhSt10multipliesIhEhhEEvT1_mT4_T2_T3_
		.amdhsa_group_segment_fixed_size 6144
		.amdhsa_private_segment_fixed_size 0
		.amdhsa_kernarg_size 36
		.amdhsa_user_sgpr_count 2
		.amdhsa_user_sgpr_dispatch_ptr 0
		.amdhsa_user_sgpr_queue_ptr 0
		.amdhsa_user_sgpr_kernarg_segment_ptr 1
		.amdhsa_user_sgpr_dispatch_id 0
		.amdhsa_user_sgpr_kernarg_preload_length 0
		.amdhsa_user_sgpr_kernarg_preload_offset 0
		.amdhsa_user_sgpr_private_segment_size 0
		.amdhsa_uses_dynamic_stack 0
		.amdhsa_enable_private_segment 0
		.amdhsa_system_sgpr_workgroup_id_x 1
		.amdhsa_system_sgpr_workgroup_id_y 0
		.amdhsa_system_sgpr_workgroup_id_z 0
		.amdhsa_system_sgpr_workgroup_info 0
		.amdhsa_system_vgpr_workitem_id 0
		.amdhsa_next_free_vgpr 30
		.amdhsa_next_free_sgpr 54
		.amdhsa_accum_offset 32
		.amdhsa_reserve_vcc 1
		.amdhsa_float_round_mode_32 0
		.amdhsa_float_round_mode_16_64 0
		.amdhsa_float_denorm_mode_32 3
		.amdhsa_float_denorm_mode_16_64 3
		.amdhsa_dx10_clamp 1
		.amdhsa_ieee_mode 1
		.amdhsa_fp16_overflow 0
		.amdhsa_tg_split 0
		.amdhsa_exception_fp_ieee_invalid_op 0
		.amdhsa_exception_fp_denorm_src 0
		.amdhsa_exception_fp_ieee_div_zero 0
		.amdhsa_exception_fp_ieee_overflow 0
		.amdhsa_exception_fp_ieee_underflow 0
		.amdhsa_exception_fp_ieee_inexact 0
		.amdhsa_exception_int_div_zero 0
	.end_amdhsa_kernel
	.section	.text._ZN7rocprim17ROCPRIM_304000_NS6detail18single_scan_kernelILb0ENS1_19wrapped_scan_configINS0_14default_configEhEEPKhPhSt10multipliesIhEhhEEvT1_mT4_T2_T3_,"axG",@progbits,_ZN7rocprim17ROCPRIM_304000_NS6detail18single_scan_kernelILb0ENS1_19wrapped_scan_configINS0_14default_configEhEEPKhPhSt10multipliesIhEhhEEvT1_mT4_T2_T3_,comdat
.Lfunc_end5:
	.size	_ZN7rocprim17ROCPRIM_304000_NS6detail18single_scan_kernelILb0ENS1_19wrapped_scan_configINS0_14default_configEhEEPKhPhSt10multipliesIhEhhEEvT1_mT4_T2_T3_, .Lfunc_end5-_ZN7rocprim17ROCPRIM_304000_NS6detail18single_scan_kernelILb0ENS1_19wrapped_scan_configINS0_14default_configEhEEPKhPhSt10multipliesIhEhhEEvT1_mT4_T2_T3_
                                        ; -- End function
	.section	.AMDGPU.csdata,"",@progbits
; Kernel info:
; codeLenInByte = 3556
; NumSgprs: 60
; NumVgprs: 30
; NumAgprs: 0
; TotalNumVgprs: 30
; ScratchSize: 0
; MemoryBound: 0
; FloatMode: 240
; IeeeMode: 1
; LDSByteSize: 6144 bytes/workgroup (compile time only)
; SGPRBlocks: 7
; VGPRBlocks: 3
; NumSGPRsForWavesPerEU: 60
; NumVGPRsForWavesPerEU: 30
; AccumOffset: 32
; Occupancy: 8
; WaveLimiterHint : 0
; COMPUTE_PGM_RSRC2:SCRATCH_EN: 0
; COMPUTE_PGM_RSRC2:USER_SGPR: 2
; COMPUTE_PGM_RSRC2:TRAP_HANDLER: 0
; COMPUTE_PGM_RSRC2:TGID_X_EN: 1
; COMPUTE_PGM_RSRC2:TGID_Y_EN: 0
; COMPUTE_PGM_RSRC2:TGID_Z_EN: 0
; COMPUTE_PGM_RSRC2:TIDIG_COMP_CNT: 0
; COMPUTE_PGM_RSRC3_GFX90A:ACCUM_OFFSET: 7
; COMPUTE_PGM_RSRC3_GFX90A:TG_SPLIT: 0
	.section	.text._ZN2at6native32tensor_kernel_scan_innermost_dimIhSt10multipliesIhEEEvPT_PKS4_jjjS4_T0_,"axG",@progbits,_ZN2at6native32tensor_kernel_scan_innermost_dimIhSt10multipliesIhEEEvPT_PKS4_jjjS4_T0_,comdat
	.protected	_ZN2at6native32tensor_kernel_scan_innermost_dimIhSt10multipliesIhEEEvPT_PKS4_jjjS4_T0_ ; -- Begin function _ZN2at6native32tensor_kernel_scan_innermost_dimIhSt10multipliesIhEEEvPT_PKS4_jjjS4_T0_
	.globl	_ZN2at6native32tensor_kernel_scan_innermost_dimIhSt10multipliesIhEEEvPT_PKS4_jjjS4_T0_
	.p2align	8
	.type	_ZN2at6native32tensor_kernel_scan_innermost_dimIhSt10multipliesIhEEEvPT_PKS4_jjjS4_T0_,@function
_ZN2at6native32tensor_kernel_scan_innermost_dimIhSt10multipliesIhEEEvPT_PKS4_jjjS4_T0_: ; @_ZN2at6native32tensor_kernel_scan_innermost_dimIhSt10multipliesIhEEEvPT_PKS4_jjjS4_T0_
; %bb.0:
	s_load_dwordx8 s[12:19], s[0:1], 0x0
	v_bfe_u32 v2, v0, 10, 10
	s_waitcnt lgkmcnt(0)
	s_lshl_b32 s3, 2, s18
	v_mul_lo_u32 v1, s3, v2
	s_mul_hi_u32 s4, s16, s17
	s_mov_b32 s20, s16
	v_add_u32_e32 v20, 0, v1
	s_cmp_lg_u32 s4, 0
	s_mov_b64 s[4:5], -1
	s_cbranch_scc1 .LBB6_26
; %bb.1:
	s_load_dword s6, s[0:1], 0x2c
	s_add_u32 s4, s0, 32
	s_addc_u32 s5, s1, 0
	s_waitcnt lgkmcnt(0)
	s_lshr_b32 s6, s6, 16
	s_mul_i32 s21, s2, s6
	s_cmp_ge_u32 s21, s16
	s_cbranch_scc1 .LBB6_25
; %bb.2:
	s_load_dword s26, s[4:5], 0x0
	s_cmp_lg_u32 s17, 0
	v_and_b32_e32 v1, 0x3ff, v0
	s_cselect_b64 s[4:5], -1, 0
	v_lshl_add_u32 v3, 1, s18, v1
	v_add_u32_e32 v12, -1, v20
	v_cndmask_b32_e64 v4, 0, 1, s[4:5]
	v_cmp_eq_u32_e64 s[8:9], 0, v1
	v_add_u32_e32 v13, s3, v12
	s_waitcnt lgkmcnt(0)
	s_mul_i32 s26, s26, s6
	s_add_i32 s27, s18, 1
	v_cmp_ne_u32_e64 s[4:5], 1, v4
	v_mov_b32_e32 v5, 0
	v_add_u32_e32 v14, v20, v1
	v_add_u32_e32 v15, v20, v3
	s_branch .LBB6_4
.LBB6_3:                                ;   in Loop: Header=BB6_4 Depth=1
	s_add_i32 s21, s21, s26
	s_cmp_ge_u32 s21, s16
	s_cbranch_scc1 .LBB6_25
.LBB6_4:                                ; =>This Loop Header: Depth=1
                                        ;     Child Loop BB6_7 Depth 2
                                        ;       Child Loop BB6_16 Depth 3
	s_and_b64 vcc, exec, s[4:5]
	s_cbranch_vccnz .LBB6_3
; %bb.5:                                ;   in Loop: Header=BB6_4 Depth=1
	v_add_u32_e32 v10, s21, v2
	v_mul_lo_u32 v4, v10, s17
	v_lshl_add_u64 v[6:7], s[14:15], 0, v[4:5]
	v_lshl_add_u64 v[8:9], s[12:13], 0, v[4:5]
	v_cmp_gt_u32_e32 vcc, s16, v10
	v_cmp_le_u32_e64 s[6:7], s16, v10
	s_mov_b32 s28, 0
	v_mov_b32_e32 v16, s19
	s_branch .LBB6_7
.LBB6_6:                                ;   in Loop: Header=BB6_7 Depth=2
	s_or_b64 exec, exec, s[22:23]
	ds_read_u8 v16, v13
	s_add_i32 s28, s28, s3
	s_cmp_ge_u32 s28, s17
	s_waitcnt lgkmcnt(0)
	s_barrier
	s_cbranch_scc1 .LBB6_3
.LBB6_7:                                ;   Parent Loop BB6_4 Depth=1
                                        ; =>  This Loop Header: Depth=2
                                        ;       Child Loop BB6_16 Depth 3
	v_add_u32_e32 v4, s28, v1
	v_add_u32_e32 v10, s28, v3
	s_and_saveexec_b64 s[22:23], vcc
	s_cbranch_execz .LBB6_14
; %bb.8:                                ;   in Loop: Header=BB6_7 Depth=2
	v_cmp_gt_u32_e64 s[10:11], s17, v4
	v_mov_b32_e32 v11, s19
	s_and_saveexec_b64 s[24:25], s[10:11]
	s_cbranch_execz .LBB6_10
; %bb.9:                                ;   in Loop: Header=BB6_7 Depth=2
	v_lshl_add_u64 v[18:19], v[6:7], 0, v[4:5]
	global_load_ubyte v11, v[18:19], off
.LBB6_10:                               ;   in Loop: Header=BB6_7 Depth=2
	s_or_b64 exec, exec, s[24:25]
	s_waitcnt vmcnt(0)
	ds_write_b8 v14, v11
	v_cmp_gt_u32_e64 s[10:11], s17, v10
	v_mov_b32_e32 v11, s19
	s_and_saveexec_b64 s[24:25], s[10:11]
	s_cbranch_execz .LBB6_12
; %bb.11:                               ;   in Loop: Header=BB6_7 Depth=2
	v_mov_b32_e32 v11, v5
	v_lshl_add_u64 v[18:19], v[6:7], 0, v[10:11]
	global_load_ubyte v11, v[18:19], off
.LBB6_12:                               ;   in Loop: Header=BB6_7 Depth=2
	s_or_b64 exec, exec, s[24:25]
	s_waitcnt vmcnt(0)
	ds_write_b8 v15, v11
	s_and_b64 exec, exec, s[8:9]
	s_cbranch_execz .LBB6_14
; %bb.13:                               ;   in Loop: Header=BB6_7 Depth=2
	ds_read_u8 v11, v20
	s_waitcnt lgkmcnt(0)
	v_mul_lo_u16_e32 v11, v11, v16
	ds_write_b8 v20, v11
.LBB6_14:                               ;   in Loop: Header=BB6_7 Depth=2
	s_or_b64 exec, exec, s[22:23]
	s_mov_b64 s[22:23], 0
	v_mov_b32_e32 v11, 0
	s_waitcnt lgkmcnt(0)
	s_barrier
	s_branch .LBB6_16
.LBB6_15:                               ;   in Loop: Header=BB6_16 Depth=3
	s_or_b64 exec, exec, s[10:11]
	v_cmp_eq_u32_e64 s[10:11], s27, v11
	s_or_b64 s[22:23], s[10:11], s[22:23]
	s_waitcnt lgkmcnt(0)
	s_barrier
	s_andn2_b64 exec, exec, s[22:23]
	s_cbranch_execz .LBB6_20
.LBB6_16:                               ;   Parent Loop BB6_4 Depth=1
                                        ;     Parent Loop BB6_7 Depth=2
                                        ; =>    This Inner Loop Header: Depth=3
	v_add_u32_e32 v16, 1, v11
	s_and_saveexec_b64 s[10:11], s[6:7]
	s_xor_b64 s[10:11], exec, s[10:11]
; %bb.17:                               ;   in Loop: Header=BB6_16 Depth=3
	v_add_u32_e32 v11, 1, v11
                                        ; implicit-def: $vgpr16
; %bb.18:                               ;   in Loop: Header=BB6_16 Depth=3
	s_andn2_saveexec_b64 s[10:11], s[10:11]
	s_cbranch_execz .LBB6_15
; %bb.19:                               ;   in Loop: Header=BB6_16 Depth=3
	v_lshlrev_b32_e64 v17, v11, 1
	v_lshrrev_b32_e32 v18, v11, v1
	v_bfm_b32 v11, v11, 0
	v_lshl_or_b32 v17, v18, v16, v17
	v_and_b32_e32 v11, v11, v1
	v_add3_u32 v11, v20, v17, v11
	v_add_u32_e32 v17, v12, v17
	ds_read_u8 v18, v11
	ds_read_u8 v17, v17
	s_waitcnt lgkmcnt(0)
	v_mul_lo_u16_e32 v17, v17, v18
	ds_write_b8 v11, v17
	v_mov_b32_e32 v11, v16
	s_branch .LBB6_15
.LBB6_20:                               ;   in Loop: Header=BB6_7 Depth=2
	s_or_b64 exec, exec, s[22:23]
	s_and_saveexec_b64 s[22:23], vcc
	s_cbranch_execz .LBB6_6
; %bb.21:                               ;   in Loop: Header=BB6_7 Depth=2
	v_cmp_gt_u32_e64 s[10:11], s17, v4
	s_and_saveexec_b64 s[24:25], s[10:11]
	s_cbranch_execz .LBB6_23
; %bb.22:                               ;   in Loop: Header=BB6_7 Depth=2
	ds_read_u8 v11, v14
	v_lshl_add_u64 v[16:17], v[8:9], 0, v[4:5]
	s_waitcnt lgkmcnt(0)
	global_store_byte v[16:17], v11, off
.LBB6_23:                               ;   in Loop: Header=BB6_7 Depth=2
	s_or_b64 exec, exec, s[24:25]
	v_cmp_gt_u32_e64 s[10:11], s17, v10
	s_and_b64 exec, exec, s[10:11]
	s_cbranch_execz .LBB6_6
; %bb.24:                               ;   in Loop: Header=BB6_7 Depth=2
	ds_read_u8 v4, v15
	v_mov_b32_e32 v11, v5
	v_lshl_add_u64 v[10:11], v[8:9], 0, v[10:11]
	s_waitcnt lgkmcnt(0)
	global_store_byte v[10:11], v4, off
	s_branch .LBB6_6
.LBB6_25:
	s_mov_b64 s[4:5], 0
.LBB6_26:
	s_andn2_b64 vcc, exec, s[4:5]
	s_cbranch_vccnz .LBB6_53
; %bb.27:
	s_load_dword s3, s[0:1], 0x2c
	s_add_u32 s0, s0, 32
	s_mov_b32 s21, 0
	s_addc_u32 s1, s1, 0
	v_mov_b64_e32 v[4:5], s[20:21]
	s_waitcnt lgkmcnt(0)
	s_lshr_b32 s3, s3, 16
	s_mul_hi_u32 s9, s3, s2
	s_mul_i32 s8, s3, s2
	v_cmp_ge_u64_e32 vcc, s[8:9], v[4:5]
	s_cbranch_vccnz .LBB6_53
; %bb.28:
	s_lshl_b32 s10, 1, s18
	s_load_dword s5, s[0:1], 0x0
	s_and_b32 s4, 0xffff, s3
	s_ashr_i32 s11, s10, 31
	s_cmp_lg_u32 s17, 0
	s_cselect_b64 s[2:3], -1, 0
	v_mov_b32_e32 v3, 0
	s_mov_b32 s22, s17
	s_mov_b32 s23, s21
	v_add_u32_e32 v4, -1, v20
	v_and_b32_e32 v0, 0x3ff, v0
	v_add_u32_e32 v6, s10, v20
	s_lshl_b64 s[16:17], s[10:11], 1
	v_cndmask_b32_e64 v5, 0, 1, s[2:3]
	v_mov_b32_e32 v1, v3
	v_cmp_eq_u32_e64 s[0:1], 0, v0
	s_waitcnt lgkmcnt(0)
	s_mul_i32 s33, s5, s4
	s_add_i32 s18, s18, 1
	v_cmp_ne_u32_e64 s[2:3], 1, v5
	v_add_u32_e32 v21, s16, v4
	v_mov_b64_e32 v[4:5], s[20:21]
	v_add_u32_e32 v22, v20, v0
	v_add_u32_e32 v23, v6, v0
	v_mov_b64_e32 v[6:7], s[22:23]
	s_branch .LBB6_30
.LBB6_29:                               ;   in Loop: Header=BB6_30 Depth=1
	s_add_u32 s8, s8, s33
	s_addc_u32 s9, s9, 0
	v_cmp_ge_u64_e32 vcc, s[8:9], v[4:5]
	s_cbranch_vccnz .LBB6_53
.LBB6_30:                               ; =>This Loop Header: Depth=1
                                        ;     Child Loop BB6_33 Depth 2
                                        ;       Child Loop BB6_43 Depth 3
	s_and_b64 vcc, exec, s[2:3]
	s_cbranch_vccnz .LBB6_29
; %bb.31:                               ;   in Loop: Header=BB6_30 Depth=1
	v_lshl_add_u64 v[12:13], s[8:9], 0, v[2:3]
	v_mov_b64_e32 v[8:9], s[14:15]
	v_mov_b64_e32 v[10:11], s[12:13]
	v_mad_u64_u32 v[8:9], s[4:5], v12, s22, v[8:9]
	v_mul_lo_u32 v14, v13, s22
	v_mad_u64_u32 v[10:11], s[4:5], v12, s22, v[10:11]
	v_add_u32_e32 v9, v14, v9
	v_add_u32_e32 v11, v14, v11
	v_cmp_gt_u64_e64 s[4:5], s[20:21], v[12:13]
	v_cmp_le_u64_e64 s[6:7], s[20:21], v[12:13]
	s_mov_b64 s[24:25], 0
	v_mov_b32_e32 v16, s19
	s_branch .LBB6_33
.LBB6_32:                               ;   in Loop: Header=BB6_33 Depth=2
	s_or_b64 exec, exec, s[26:27]
	ds_read_u8 v16, v21
	s_add_u32 s24, s24, s16
	s_addc_u32 s25, s25, s17
	v_cmp_ge_u64_e32 vcc, s[24:25], v[6:7]
	s_waitcnt lgkmcnt(0)
	s_barrier
	s_cbranch_vccnz .LBB6_29
.LBB6_33:                               ;   Parent Loop BB6_30 Depth=1
                                        ; =>  This Loop Header: Depth=2
                                        ;       Child Loop BB6_43 Depth 3
	v_lshl_add_u64 v[14:15], s[24:25], 0, v[0:1]
	v_lshl_add_u64 v[12:13], v[14:15], 0, s[10:11]
	s_and_saveexec_b64 s[26:27], s[4:5]
	s_cbranch_execz .LBB6_40
; %bb.34:                               ;   in Loop: Header=BB6_33 Depth=2
	v_cmp_gt_u64_e32 vcc, s[22:23], v[14:15]
	v_mov_b32_e32 v17, s19
	s_and_saveexec_b64 s[28:29], vcc
	s_cbranch_execz .LBB6_36
; %bb.35:                               ;   in Loop: Header=BB6_33 Depth=2
	v_lshl_add_u64 v[18:19], v[8:9], 0, v[14:15]
	global_load_ubyte v17, v[18:19], off
.LBB6_36:                               ;   in Loop: Header=BB6_33 Depth=2
	s_or_b64 exec, exec, s[28:29]
	s_waitcnt vmcnt(0)
	ds_write_b8 v22, v17
	v_cmp_gt_u64_e32 vcc, s[22:23], v[12:13]
	v_mov_b32_e32 v17, s19
	s_and_saveexec_b64 s[28:29], vcc
	s_cbranch_execz .LBB6_38
; %bb.37:                               ;   in Loop: Header=BB6_33 Depth=2
	v_lshl_add_u64 v[18:19], v[8:9], 0, v[12:13]
	global_load_ubyte v17, v[18:19], off
.LBB6_38:                               ;   in Loop: Header=BB6_33 Depth=2
	s_or_b64 exec, exec, s[28:29]
	s_waitcnt vmcnt(0)
	ds_write_b8 v23, v17
	s_and_b64 exec, exec, s[0:1]
	s_cbranch_execz .LBB6_40
; %bb.39:                               ;   in Loop: Header=BB6_33 Depth=2
	ds_read_u8 v17, v20
	s_waitcnt lgkmcnt(0)
	v_mul_lo_u16_e32 v16, v17, v16
	ds_write_b8 v20, v16
.LBB6_40:                               ;   in Loop: Header=BB6_33 Depth=2
	s_or_b64 exec, exec, s[26:27]
	s_mov_b64 s[26:27], 0
	v_mov_b32_e32 v25, 0
	s_waitcnt lgkmcnt(0)
	s_barrier
	s_branch .LBB6_43
.LBB6_41:                               ;   in Loop: Header=BB6_43 Depth=3
	s_or_b64 exec, exec, s[30:31]
	v_lshrrev_b32_e32 v17, v25, v0
	v_lshl_or_b32 v16, v17, v24, v16
	v_add_u32_e32 v16, v20, v16
	v_add_u32_e32 v17, v16, v18
	v_add_u32_e32 v16, -1, v16
	ds_read_u8 v18, v17
	ds_read_u8 v16, v16
	s_waitcnt lgkmcnt(0)
	v_mul_lo_u16_e32 v16, v16, v18
	ds_write_b8 v17, v16
.LBB6_42:                               ;   in Loop: Header=BB6_43 Depth=3
	s_or_b64 exec, exec, s[28:29]
	v_cmp_eq_u32_e32 vcc, s18, v24
	s_or_b64 s[26:27], vcc, s[26:27]
	v_mov_b32_e32 v25, v24
	s_waitcnt lgkmcnt(0)
	s_barrier
	s_andn2_b64 exec, exec, s[26:27]
	s_cbranch_execz .LBB6_48
.LBB6_43:                               ;   Parent Loop BB6_30 Depth=1
                                        ;     Parent Loop BB6_33 Depth=2
                                        ; =>    This Inner Loop Header: Depth=3
	v_add_u32_e32 v24, 1, v25
	s_and_saveexec_b64 s[28:29], s[6:7]
	s_xor_b64 s[28:29], exec, s[28:29]
; %bb.44:                               ;   in Loop: Header=BB6_43 Depth=3
	v_add_u32_e32 v24, 1, v25
                                        ; implicit-def: $vgpr25
; %bb.45:                               ;   in Loop: Header=BB6_43 Depth=3
	s_andn2_saveexec_b64 s[28:29], s[28:29]
	s_cbranch_execz .LBB6_42
; %bb.46:                               ;   in Loop: Header=BB6_43 Depth=3
	v_lshlrev_b32_e64 v16, v25, 1
	v_ashrrev_i32_e32 v17, 31, v16
	v_cmp_ge_u64_e32 vcc, v[0:1], v[16:17]
	v_mov_b64_e32 v[18:19], v[0:1]
	s_and_saveexec_b64 s[30:31], vcc
	s_cbranch_execz .LBB6_41
; %bb.47:                               ;   in Loop: Header=BB6_43 Depth=3
	v_cvt_f32_u32_e32 v17, v16
	v_sub_u32_e32 v18, 0, v16
	v_rcp_iflag_f32_e32 v17, v17
	s_nop 0
	v_mul_f32_e32 v17, 0x4f7ffffe, v17
	v_cvt_u32_f32_e32 v17, v17
	v_mul_lo_u32 v18, v18, v17
	v_mul_hi_u32 v18, v17, v18
	v_add_u32_e32 v17, v17, v18
	v_mul_hi_u32 v17, v0, v17
	v_mul_lo_u32 v17, v17, v16
	v_sub_u32_e32 v17, v0, v17
	v_sub_u32_e32 v18, v17, v16
	v_cmp_ge_u32_e32 vcc, v17, v16
	s_nop 1
	v_cndmask_b32_e32 v17, v17, v18, vcc
	v_sub_u32_e32 v18, v17, v16
	v_cmp_ge_u32_e32 vcc, v17, v16
	s_nop 1
	v_cndmask_b32_e32 v18, v17, v18, vcc
	s_branch .LBB6_41
.LBB6_48:                               ;   in Loop: Header=BB6_33 Depth=2
	s_or_b64 exec, exec, s[26:27]
	s_and_saveexec_b64 s[26:27], s[4:5]
	s_cbranch_execz .LBB6_32
; %bb.49:                               ;   in Loop: Header=BB6_33 Depth=2
	v_cmp_gt_u64_e32 vcc, s[22:23], v[14:15]
	s_and_saveexec_b64 s[28:29], vcc
	s_cbranch_execz .LBB6_51
; %bb.50:                               ;   in Loop: Header=BB6_33 Depth=2
	ds_read_u8 v16, v22
	v_lshl_add_u64 v[14:15], v[10:11], 0, v[14:15]
	s_waitcnt lgkmcnt(0)
	global_store_byte v[14:15], v16, off
.LBB6_51:                               ;   in Loop: Header=BB6_33 Depth=2
	s_or_b64 exec, exec, s[28:29]
	v_cmp_gt_u64_e32 vcc, s[22:23], v[12:13]
	s_and_b64 exec, exec, vcc
	s_cbranch_execz .LBB6_32
; %bb.52:                               ;   in Loop: Header=BB6_33 Depth=2
	ds_read_u8 v14, v23
	v_lshl_add_u64 v[12:13], v[10:11], 0, v[12:13]
	s_waitcnt lgkmcnt(0)
	global_store_byte v[12:13], v14, off
	s_branch .LBB6_32
.LBB6_53:
	s_endpgm
	.section	.rodata,"a",@progbits
	.p2align	6, 0x0
	.amdhsa_kernel _ZN2at6native32tensor_kernel_scan_innermost_dimIhSt10multipliesIhEEEvPT_PKS4_jjjS4_T0_
		.amdhsa_group_segment_fixed_size 0
		.amdhsa_private_segment_fixed_size 0
		.amdhsa_kernarg_size 288
		.amdhsa_user_sgpr_count 2
		.amdhsa_user_sgpr_dispatch_ptr 0
		.amdhsa_user_sgpr_queue_ptr 0
		.amdhsa_user_sgpr_kernarg_segment_ptr 1
		.amdhsa_user_sgpr_dispatch_id 0
		.amdhsa_user_sgpr_kernarg_preload_length 0
		.amdhsa_user_sgpr_kernarg_preload_offset 0
		.amdhsa_user_sgpr_private_segment_size 0
		.amdhsa_uses_dynamic_stack 0
		.amdhsa_enable_private_segment 0
		.amdhsa_system_sgpr_workgroup_id_x 1
		.amdhsa_system_sgpr_workgroup_id_y 0
		.amdhsa_system_sgpr_workgroup_id_z 0
		.amdhsa_system_sgpr_workgroup_info 0
		.amdhsa_system_vgpr_workitem_id 1
		.amdhsa_next_free_vgpr 26
		.amdhsa_next_free_sgpr 34
		.amdhsa_accum_offset 28
		.amdhsa_reserve_vcc 1
		.amdhsa_float_round_mode_32 0
		.amdhsa_float_round_mode_16_64 0
		.amdhsa_float_denorm_mode_32 3
		.amdhsa_float_denorm_mode_16_64 3
		.amdhsa_dx10_clamp 1
		.amdhsa_ieee_mode 1
		.amdhsa_fp16_overflow 0
		.amdhsa_tg_split 0
		.amdhsa_exception_fp_ieee_invalid_op 0
		.amdhsa_exception_fp_denorm_src 0
		.amdhsa_exception_fp_ieee_div_zero 0
		.amdhsa_exception_fp_ieee_overflow 0
		.amdhsa_exception_fp_ieee_underflow 0
		.amdhsa_exception_fp_ieee_inexact 0
		.amdhsa_exception_int_div_zero 0
	.end_amdhsa_kernel
	.section	.text._ZN2at6native32tensor_kernel_scan_innermost_dimIhSt10multipliesIhEEEvPT_PKS4_jjjS4_T0_,"axG",@progbits,_ZN2at6native32tensor_kernel_scan_innermost_dimIhSt10multipliesIhEEEvPT_PKS4_jjjS4_T0_,comdat
.Lfunc_end6:
	.size	_ZN2at6native32tensor_kernel_scan_innermost_dimIhSt10multipliesIhEEEvPT_PKS4_jjjS4_T0_, .Lfunc_end6-_ZN2at6native32tensor_kernel_scan_innermost_dimIhSt10multipliesIhEEEvPT_PKS4_jjjS4_T0_
                                        ; -- End function
	.section	.AMDGPU.csdata,"",@progbits
; Kernel info:
; codeLenInByte = 1572
; NumSgprs: 40
; NumVgprs: 26
; NumAgprs: 0
; TotalNumVgprs: 26
; ScratchSize: 0
; MemoryBound: 0
; FloatMode: 240
; IeeeMode: 1
; LDSByteSize: 0 bytes/workgroup (compile time only)
; SGPRBlocks: 4
; VGPRBlocks: 3
; NumSGPRsForWavesPerEU: 40
; NumVGPRsForWavesPerEU: 26
; AccumOffset: 28
; Occupancy: 8
; WaveLimiterHint : 0
; COMPUTE_PGM_RSRC2:SCRATCH_EN: 0
; COMPUTE_PGM_RSRC2:USER_SGPR: 2
; COMPUTE_PGM_RSRC2:TRAP_HANDLER: 0
; COMPUTE_PGM_RSRC2:TGID_X_EN: 1
; COMPUTE_PGM_RSRC2:TGID_Y_EN: 0
; COMPUTE_PGM_RSRC2:TGID_Z_EN: 0
; COMPUTE_PGM_RSRC2:TIDIG_COMP_CNT: 1
; COMPUTE_PGM_RSRC3_GFX90A:ACCUM_OFFSET: 6
; COMPUTE_PGM_RSRC3_GFX90A:TG_SPLIT: 0
	.section	.text._ZN2at6native28tensor_kernel_scan_outer_dimIhjSt10multipliesIhEEEvPT_PKS4_jjjS4_T1_,"axG",@progbits,_ZN2at6native28tensor_kernel_scan_outer_dimIhjSt10multipliesIhEEEvPT_PKS4_jjjS4_T1_,comdat
	.protected	_ZN2at6native28tensor_kernel_scan_outer_dimIhjSt10multipliesIhEEEvPT_PKS4_jjjS4_T1_ ; -- Begin function _ZN2at6native28tensor_kernel_scan_outer_dimIhjSt10multipliesIhEEEvPT_PKS4_jjjS4_T1_
	.globl	_ZN2at6native28tensor_kernel_scan_outer_dimIhjSt10multipliesIhEEEvPT_PKS4_jjjS4_T1_
	.p2align	8
	.type	_ZN2at6native28tensor_kernel_scan_outer_dimIhjSt10multipliesIhEEEvPT_PKS4_jjjS4_T1_,@function
_ZN2at6native28tensor_kernel_scan_outer_dimIhjSt10multipliesIhEEEvPT_PKS4_jjjS4_T1_: ; @_ZN2at6native28tensor_kernel_scan_outer_dimIhjSt10multipliesIhEEEvPT_PKS4_jjjS4_T1_
; %bb.0:
	s_load_dwordx4 s[8:11], s[0:1], 0x10
	s_waitcnt lgkmcnt(0)
	s_cmp_ge_u32 s2, s8
	s_cbranch_scc1 .LBB7_9
; %bb.1:
	s_load_dword s4, s[0:1], 0x2c
	s_load_dwordx4 s[12:15], s[0:1], 0x0
	s_load_dword s24, s[0:1], 0x20
	s_add_u32 s6, s0, 32
	s_addc_u32 s7, s1, 0
	s_waitcnt lgkmcnt(0)
	s_and_b32 s25, s4, 0xffff
	s_mul_i32 s3, s3, s25
	s_cmp_lg_u32 s10, 0
	v_add_u32_e32 v4, s3, v0
	s_mul_i32 s3, s2, s10
	s_cselect_b64 s[4:5], -1, 0
	s_mov_b32 s17, 0
	s_mul_i32 s16, s3, s9
	s_mul_i32 s3, s24, s10
	v_cndmask_b32_e64 v0, 0, 1, s[4:5]
	v_cmp_gt_u32_e64 s[0:1], s9, v4
	s_mov_b32 s18, s9
	s_mov_b32 s19, s17
	s_mul_i32 s3, s3, s9
	v_cmp_ne_u32_e64 s[4:5], 1, v0
	v_mov_b32_e32 v1, 0
	s_branch .LBB7_3
.LBB7_2:                                ;   in Loop: Header=BB7_3 Depth=1
	s_or_b64 exec, exec, s[20:21]
	s_add_i32 s2, s24, s2
	s_add_i32 s16, s16, s3
	s_cmp_ge_u32 s2, s8
	s_cbranch_scc1 .LBB7_9
.LBB7_3:                                ; =>This Loop Header: Depth=1
                                        ;     Child Loop BB7_6 Depth 2
                                        ;       Child Loop BB7_8 Depth 3
	s_and_saveexec_b64 s[20:21], s[0:1]
	s_cbranch_execz .LBB7_2
; %bb.4:                                ;   in Loop: Header=BB7_3 Depth=1
	s_load_dword s26, s[6:7], 0x4
	s_mov_b64 s[22:23], 0
	v_mov_b32_e32 v0, v4
	s_waitcnt lgkmcnt(0)
	s_mul_i32 s26, s26, s25
	s_branch .LBB7_6
.LBB7_5:                                ;   in Loop: Header=BB7_6 Depth=2
	v_add_u32_e32 v0, s26, v0
	v_cmp_le_u32_e32 vcc, s9, v0
	s_or_b64 s[22:23], vcc, s[22:23]
	s_andn2_b64 exec, exec, s[22:23]
	s_cbranch_execz .LBB7_2
.LBB7_6:                                ;   Parent Loop BB7_3 Depth=1
                                        ; =>  This Loop Header: Depth=2
                                        ;       Child Loop BB7_8 Depth 3
	s_and_b64 vcc, exec, s[4:5]
	s_cbranch_vccnz .LBB7_5
; %bb.7:                                ;   in Loop: Header=BB7_6 Depth=2
	v_lshl_add_u64 v[2:3], s[16:17], 0, v[0:1]
	v_mov_b32_e32 v5, s11
	s_mov_b32 s27, s10
.LBB7_8:                                ;   Parent Loop BB7_3 Depth=1
                                        ;     Parent Loop BB7_6 Depth=2
                                        ; =>    This Inner Loop Header: Depth=3
	v_lshl_add_u64 v[6:7], s[14:15], 0, v[2:3]
	global_load_ubyte v8, v[6:7], off
	s_add_i32 s27, s27, -1
	v_lshl_add_u64 v[6:7], s[12:13], 0, v[2:3]
	v_lshl_add_u64 v[2:3], v[2:3], 0, s[18:19]
	s_cmp_eq_u32 s27, 0
	s_waitcnt vmcnt(0)
	v_mul_lo_u16_e32 v5, v8, v5
	global_store_byte v[6:7], v5, off
	s_cbranch_scc0 .LBB7_8
	s_branch .LBB7_5
.LBB7_9:
	s_endpgm
	.section	.rodata,"a",@progbits
	.p2align	6, 0x0
	.amdhsa_kernel _ZN2at6native28tensor_kernel_scan_outer_dimIhjSt10multipliesIhEEEvPT_PKS4_jjjS4_T1_
		.amdhsa_group_segment_fixed_size 0
		.amdhsa_private_segment_fixed_size 0
		.amdhsa_kernarg_size 288
		.amdhsa_user_sgpr_count 2
		.amdhsa_user_sgpr_dispatch_ptr 0
		.amdhsa_user_sgpr_queue_ptr 0
		.amdhsa_user_sgpr_kernarg_segment_ptr 1
		.amdhsa_user_sgpr_dispatch_id 0
		.amdhsa_user_sgpr_kernarg_preload_length 0
		.amdhsa_user_sgpr_kernarg_preload_offset 0
		.amdhsa_user_sgpr_private_segment_size 0
		.amdhsa_uses_dynamic_stack 0
		.amdhsa_enable_private_segment 0
		.amdhsa_system_sgpr_workgroup_id_x 1
		.amdhsa_system_sgpr_workgroup_id_y 1
		.amdhsa_system_sgpr_workgroup_id_z 0
		.amdhsa_system_sgpr_workgroup_info 0
		.amdhsa_system_vgpr_workitem_id 0
		.amdhsa_next_free_vgpr 9
		.amdhsa_next_free_sgpr 28
		.amdhsa_accum_offset 12
		.amdhsa_reserve_vcc 1
		.amdhsa_float_round_mode_32 0
		.amdhsa_float_round_mode_16_64 0
		.amdhsa_float_denorm_mode_32 3
		.amdhsa_float_denorm_mode_16_64 3
		.amdhsa_dx10_clamp 1
		.amdhsa_ieee_mode 1
		.amdhsa_fp16_overflow 0
		.amdhsa_tg_split 0
		.amdhsa_exception_fp_ieee_invalid_op 0
		.amdhsa_exception_fp_denorm_src 0
		.amdhsa_exception_fp_ieee_div_zero 0
		.amdhsa_exception_fp_ieee_overflow 0
		.amdhsa_exception_fp_ieee_underflow 0
		.amdhsa_exception_fp_ieee_inexact 0
		.amdhsa_exception_int_div_zero 0
	.end_amdhsa_kernel
	.section	.text._ZN2at6native28tensor_kernel_scan_outer_dimIhjSt10multipliesIhEEEvPT_PKS4_jjjS4_T1_,"axG",@progbits,_ZN2at6native28tensor_kernel_scan_outer_dimIhjSt10multipliesIhEEEvPT_PKS4_jjjS4_T1_,comdat
.Lfunc_end7:
	.size	_ZN2at6native28tensor_kernel_scan_outer_dimIhjSt10multipliesIhEEEvPT_PKS4_jjjS4_T1_, .Lfunc_end7-_ZN2at6native28tensor_kernel_scan_outer_dimIhjSt10multipliesIhEEEvPT_PKS4_jjjS4_T1_
                                        ; -- End function
	.section	.AMDGPU.csdata,"",@progbits
; Kernel info:
; codeLenInByte = 308
; NumSgprs: 34
; NumVgprs: 9
; NumAgprs: 0
; TotalNumVgprs: 9
; ScratchSize: 0
; MemoryBound: 0
; FloatMode: 240
; IeeeMode: 1
; LDSByteSize: 0 bytes/workgroup (compile time only)
; SGPRBlocks: 4
; VGPRBlocks: 1
; NumSGPRsForWavesPerEU: 34
; NumVGPRsForWavesPerEU: 9
; AccumOffset: 12
; Occupancy: 8
; WaveLimiterHint : 0
; COMPUTE_PGM_RSRC2:SCRATCH_EN: 0
; COMPUTE_PGM_RSRC2:USER_SGPR: 2
; COMPUTE_PGM_RSRC2:TRAP_HANDLER: 0
; COMPUTE_PGM_RSRC2:TGID_X_EN: 1
; COMPUTE_PGM_RSRC2:TGID_Y_EN: 1
; COMPUTE_PGM_RSRC2:TGID_Z_EN: 0
; COMPUTE_PGM_RSRC2:TIDIG_COMP_CNT: 0
; COMPUTE_PGM_RSRC3_GFX90A:ACCUM_OFFSET: 2
; COMPUTE_PGM_RSRC3_GFX90A:TG_SPLIT: 0
	.section	.text._ZN2at6native28tensor_kernel_scan_outer_dimIhmSt10multipliesIhEEEvPT_PKS4_jjjS4_T1_,"axG",@progbits,_ZN2at6native28tensor_kernel_scan_outer_dimIhmSt10multipliesIhEEEvPT_PKS4_jjjS4_T1_,comdat
	.protected	_ZN2at6native28tensor_kernel_scan_outer_dimIhmSt10multipliesIhEEEvPT_PKS4_jjjS4_T1_ ; -- Begin function _ZN2at6native28tensor_kernel_scan_outer_dimIhmSt10multipliesIhEEEvPT_PKS4_jjjS4_T1_
	.globl	_ZN2at6native28tensor_kernel_scan_outer_dimIhmSt10multipliesIhEEEvPT_PKS4_jjjS4_T1_
	.p2align	8
	.type	_ZN2at6native28tensor_kernel_scan_outer_dimIhmSt10multipliesIhEEEvPT_PKS4_jjjS4_T1_,@function
_ZN2at6native28tensor_kernel_scan_outer_dimIhmSt10multipliesIhEEEvPT_PKS4_jjjS4_T1_: ; @_ZN2at6native28tensor_kernel_scan_outer_dimIhmSt10multipliesIhEEEvPT_PKS4_jjjS4_T1_
; %bb.0:
	s_load_dwordx4 s[8:11], s[0:1], 0x10
	s_waitcnt lgkmcnt(0)
	s_cmp_ge_u32 s2, s8
	s_cbranch_scc1 .LBB8_9
; %bb.1:
	s_load_dword s4, s[0:1], 0x2c
	s_load_dwordx4 s[12:15], s[0:1], 0x0
	s_load_dword s24, s[0:1], 0x20
	s_add_u32 s6, s0, 32
	s_addc_u32 s7, s1, 0
	s_waitcnt lgkmcnt(0)
	s_and_b32 s25, s4, 0xffff
	s_cmp_lg_u32 s10, 0
	s_mul_i32 s3, s3, s25
	s_cselect_b64 s[4:5], -1, 0
	v_add_u32_e32 v4, s3, v0
	v_cndmask_b32_e64 v0, 0, 1, s[4:5]
	v_cmp_gt_u32_e64 s[0:1], s9, v4
	s_mov_b32 s17, 0
	s_mov_b32 s16, s9
	s_mul_hi_u32 s3, s10, s9
	s_mul_i32 s26, s10, s9
	v_cmp_ne_u32_e64 s[4:5], 1, v0
	v_mov_b32_e32 v1, 0
	s_branch .LBB8_3
.LBB8_2:                                ;   in Loop: Header=BB8_3 Depth=1
	s_or_b64 exec, exec, s[18:19]
	s_add_i32 s2, s2, s24
	s_cmp_ge_u32 s2, s8
	s_cbranch_scc1 .LBB8_9
.LBB8_3:                                ; =>This Loop Header: Depth=1
                                        ;     Child Loop BB8_6 Depth 2
                                        ;       Child Loop BB8_8 Depth 3
	s_and_saveexec_b64 s[18:19], s[0:1]
	s_cbranch_execz .LBB8_2
; %bb.4:                                ;   in Loop: Header=BB8_3 Depth=1
	s_load_dword s27, s[6:7], 0x4
	s_mul_i32 s21, s3, s2
	s_mul_hi_u32 s22, s26, s2
	s_mul_i32 s20, s26, s2
	s_add_i32 s21, s22, s21
	s_waitcnt lgkmcnt(0)
	s_mul_i32 s27, s27, s25
	s_mov_b64 s[22:23], 0
	v_mov_b32_e32 v0, v4
	s_branch .LBB8_6
.LBB8_5:                                ;   in Loop: Header=BB8_6 Depth=2
	v_add_u32_e32 v0, s27, v0
	v_cmp_le_u32_e32 vcc, s9, v0
	s_or_b64 s[22:23], vcc, s[22:23]
	s_andn2_b64 exec, exec, s[22:23]
	s_cbranch_execz .LBB8_2
.LBB8_6:                                ;   Parent Loop BB8_3 Depth=1
                                        ; =>  This Loop Header: Depth=2
                                        ;       Child Loop BB8_8 Depth 3
	s_and_b64 vcc, exec, s[4:5]
	s_cbranch_vccnz .LBB8_5
; %bb.7:                                ;   in Loop: Header=BB8_6 Depth=2
	v_lshl_add_u64 v[2:3], s[20:21], 0, v[0:1]
	v_mov_b32_e32 v5, s11
	s_mov_b32 s28, s10
.LBB8_8:                                ;   Parent Loop BB8_3 Depth=1
                                        ;     Parent Loop BB8_6 Depth=2
                                        ; =>    This Inner Loop Header: Depth=3
	v_lshl_add_u64 v[6:7], s[14:15], 0, v[2:3]
	global_load_ubyte v8, v[6:7], off
	s_add_i32 s28, s28, -1
	v_lshl_add_u64 v[6:7], s[12:13], 0, v[2:3]
	v_lshl_add_u64 v[2:3], v[2:3], 0, s[16:17]
	s_cmp_eq_u32 s28, 0
	s_waitcnt vmcnt(0)
	v_mul_lo_u16_e32 v5, v8, v5
	global_store_byte v[6:7], v5, off
	s_cbranch_scc0 .LBB8_8
	s_branch .LBB8_5
.LBB8_9:
	s_endpgm
	.section	.rodata,"a",@progbits
	.p2align	6, 0x0
	.amdhsa_kernel _ZN2at6native28tensor_kernel_scan_outer_dimIhmSt10multipliesIhEEEvPT_PKS4_jjjS4_T1_
		.amdhsa_group_segment_fixed_size 0
		.amdhsa_private_segment_fixed_size 0
		.amdhsa_kernarg_size 288
		.amdhsa_user_sgpr_count 2
		.amdhsa_user_sgpr_dispatch_ptr 0
		.amdhsa_user_sgpr_queue_ptr 0
		.amdhsa_user_sgpr_kernarg_segment_ptr 1
		.amdhsa_user_sgpr_dispatch_id 0
		.amdhsa_user_sgpr_kernarg_preload_length 0
		.amdhsa_user_sgpr_kernarg_preload_offset 0
		.amdhsa_user_sgpr_private_segment_size 0
		.amdhsa_uses_dynamic_stack 0
		.amdhsa_enable_private_segment 0
		.amdhsa_system_sgpr_workgroup_id_x 1
		.amdhsa_system_sgpr_workgroup_id_y 1
		.amdhsa_system_sgpr_workgroup_id_z 0
		.amdhsa_system_sgpr_workgroup_info 0
		.amdhsa_system_vgpr_workitem_id 0
		.amdhsa_next_free_vgpr 9
		.amdhsa_next_free_sgpr 29
		.amdhsa_accum_offset 12
		.amdhsa_reserve_vcc 1
		.amdhsa_float_round_mode_32 0
		.amdhsa_float_round_mode_16_64 0
		.amdhsa_float_denorm_mode_32 3
		.amdhsa_float_denorm_mode_16_64 3
		.amdhsa_dx10_clamp 1
		.amdhsa_ieee_mode 1
		.amdhsa_fp16_overflow 0
		.amdhsa_tg_split 0
		.amdhsa_exception_fp_ieee_invalid_op 0
		.amdhsa_exception_fp_denorm_src 0
		.amdhsa_exception_fp_ieee_div_zero 0
		.amdhsa_exception_fp_ieee_overflow 0
		.amdhsa_exception_fp_ieee_underflow 0
		.amdhsa_exception_fp_ieee_inexact 0
		.amdhsa_exception_int_div_zero 0
	.end_amdhsa_kernel
	.section	.text._ZN2at6native28tensor_kernel_scan_outer_dimIhmSt10multipliesIhEEEvPT_PKS4_jjjS4_T1_,"axG",@progbits,_ZN2at6native28tensor_kernel_scan_outer_dimIhmSt10multipliesIhEEEvPT_PKS4_jjjS4_T1_,comdat
.Lfunc_end8:
	.size	_ZN2at6native28tensor_kernel_scan_outer_dimIhmSt10multipliesIhEEEvPT_PKS4_jjjS4_T1_, .Lfunc_end8-_ZN2at6native28tensor_kernel_scan_outer_dimIhmSt10multipliesIhEEEvPT_PKS4_jjjS4_T1_
                                        ; -- End function
	.section	.AMDGPU.csdata,"",@progbits
; Kernel info:
; codeLenInByte = 308
; NumSgprs: 35
; NumVgprs: 9
; NumAgprs: 0
; TotalNumVgprs: 9
; ScratchSize: 0
; MemoryBound: 0
; FloatMode: 240
; IeeeMode: 1
; LDSByteSize: 0 bytes/workgroup (compile time only)
; SGPRBlocks: 4
; VGPRBlocks: 1
; NumSGPRsForWavesPerEU: 35
; NumVGPRsForWavesPerEU: 9
; AccumOffset: 12
; Occupancy: 8
; WaveLimiterHint : 0
; COMPUTE_PGM_RSRC2:SCRATCH_EN: 0
; COMPUTE_PGM_RSRC2:USER_SGPR: 2
; COMPUTE_PGM_RSRC2:TRAP_HANDLER: 0
; COMPUTE_PGM_RSRC2:TGID_X_EN: 1
; COMPUTE_PGM_RSRC2:TGID_Y_EN: 1
; COMPUTE_PGM_RSRC2:TGID_Z_EN: 0
; COMPUTE_PGM_RSRC2:TIDIG_COMP_CNT: 0
; COMPUTE_PGM_RSRC3_GFX90A:ACCUM_OFFSET: 2
; COMPUTE_PGM_RSRC3_GFX90A:TG_SPLIT: 0
	.section	.text._ZN7rocprim17ROCPRIM_304000_NS6detail31init_lookback_scan_state_kernelINS1_19lookback_scan_stateIaLb1ELb1EEEEEvT_jjPNS5_10value_typeE,"axG",@progbits,_ZN7rocprim17ROCPRIM_304000_NS6detail31init_lookback_scan_state_kernelINS1_19lookback_scan_stateIaLb1ELb1EEEEEvT_jjPNS5_10value_typeE,comdat
	.protected	_ZN7rocprim17ROCPRIM_304000_NS6detail31init_lookback_scan_state_kernelINS1_19lookback_scan_stateIaLb1ELb1EEEEEvT_jjPNS5_10value_typeE ; -- Begin function _ZN7rocprim17ROCPRIM_304000_NS6detail31init_lookback_scan_state_kernelINS1_19lookback_scan_stateIaLb1ELb1EEEEEvT_jjPNS5_10value_typeE
	.globl	_ZN7rocprim17ROCPRIM_304000_NS6detail31init_lookback_scan_state_kernelINS1_19lookback_scan_stateIaLb1ELb1EEEEEvT_jjPNS5_10value_typeE
	.p2align	8
	.type	_ZN7rocprim17ROCPRIM_304000_NS6detail31init_lookback_scan_state_kernelINS1_19lookback_scan_stateIaLb1ELb1EEEEEvT_jjPNS5_10value_typeE,@function
_ZN7rocprim17ROCPRIM_304000_NS6detail31init_lookback_scan_state_kernelINS1_19lookback_scan_stateIaLb1ELb1EEEEEvT_jjPNS5_10value_typeE: ; @_ZN7rocprim17ROCPRIM_304000_NS6detail31init_lookback_scan_state_kernelINS1_19lookback_scan_stateIaLb1ELb1EEEEEvT_jjPNS5_10value_typeE
; %bb.0:
	s_load_dword s3, s[0:1], 0x24
	s_load_dwordx2 s[8:9], s[0:1], 0x10
	s_load_dwordx4 s[4:7], s[0:1], 0x0
	s_waitcnt lgkmcnt(0)
	s_and_b32 s0, s3, 0xffff
	s_mul_i32 s2, s2, s0
	s_cmp_eq_u64 s[8:9], 0
	v_add_u32_e32 v0, s2, v0
	s_cbranch_scc1 .LBB9_8
; %bb.1:
	s_cmp_lt_u32 s7, s6
	s_cselect_b32 s0, s7, 0
	s_mov_b32 s3, 0
	v_cmp_eq_u32_e32 vcc, s0, v0
	s_and_saveexec_b64 s[0:1], vcc
	s_cbranch_execz .LBB9_7
; %bb.2:
	s_add_i32 s2, s7, 64
	s_lshl_b64 s[2:3], s[2:3], 1
	s_add_u32 s2, s4, s2
	s_addc_u32 s3, s5, s3
	v_mov_b32_e32 v1, 0
	global_load_ushort v2, v1, s[2:3] sc1
	s_mov_b32 s7, 1
	s_movk_i32 s10, 0xff
	s_waitcnt vmcnt(0)
	v_cmp_lt_u16_e32 vcc, s10, v2
	s_cbranch_vccnz .LBB9_6
.LBB9_3:                                ; =>This Loop Header: Depth=1
                                        ;     Child Loop BB9_4 Depth 2
	s_max_u32 s11, s7, 1
.LBB9_4:                                ;   Parent Loop BB9_3 Depth=1
                                        ; =>  This Inner Loop Header: Depth=2
	s_add_i32 s11, s11, -1
	s_cmp_eq_u32 s11, 0
	s_sleep 1
	s_cbranch_scc0 .LBB9_4
; %bb.5:                                ;   in Loop: Header=BB9_3 Depth=1
	global_load_ushort v2, v1, s[2:3] sc1
	s_cmp_lt_u32 s7, 32
	s_cselect_b64 s[12:13], -1, 0
	s_cmp_lg_u64 s[12:13], 0
	s_addc_u32 s7, s7, 0
	s_waitcnt vmcnt(0)
	v_cmp_lt_u16_e32 vcc, s10, v2
	s_cbranch_vccz .LBB9_3
.LBB9_6:
	v_mov_b32_e32 v1, 0
	global_store_byte v1, v2, s[8:9]
.LBB9_7:
	s_or_b64 exec, exec, s[0:1]
.LBB9_8:
	v_cmp_gt_u32_e32 vcc, s6, v0
	s_and_saveexec_b64 s[0:1], vcc
	s_cbranch_execnz .LBB9_11
; %bb.9:
	s_or_b64 exec, exec, s[0:1]
	v_cmp_gt_u32_e32 vcc, 64, v0
	s_and_saveexec_b64 s[0:1], vcc
	s_cbranch_execnz .LBB9_12
.LBB9_10:
	s_endpgm
.LBB9_11:
	v_add_u32_e32 v2, 64, v0
	v_mov_b32_e32 v3, 0
	v_lshl_add_u64 v[4:5], v[2:3], 1, s[4:5]
	global_store_short v[4:5], v3, off
	s_or_b64 exec, exec, s[0:1]
	v_cmp_gt_u32_e32 vcc, 64, v0
	s_and_saveexec_b64 s[0:1], vcc
	s_cbranch_execz .LBB9_10
.LBB9_12:
	v_mov_b32_e32 v1, 0
	v_lshl_add_u64 v[0:1], v[0:1], 1, s[4:5]
	v_mov_b32_e32 v2, 0xffffff00
	global_store_short v[0:1], v2, off
	s_endpgm
	.section	.rodata,"a",@progbits
	.p2align	6, 0x0
	.amdhsa_kernel _ZN7rocprim17ROCPRIM_304000_NS6detail31init_lookback_scan_state_kernelINS1_19lookback_scan_stateIaLb1ELb1EEEEEvT_jjPNS5_10value_typeE
		.amdhsa_group_segment_fixed_size 0
		.amdhsa_private_segment_fixed_size 0
		.amdhsa_kernarg_size 280
		.amdhsa_user_sgpr_count 2
		.amdhsa_user_sgpr_dispatch_ptr 0
		.amdhsa_user_sgpr_queue_ptr 0
		.amdhsa_user_sgpr_kernarg_segment_ptr 1
		.amdhsa_user_sgpr_dispatch_id 0
		.amdhsa_user_sgpr_kernarg_preload_length 0
		.amdhsa_user_sgpr_kernarg_preload_offset 0
		.amdhsa_user_sgpr_private_segment_size 0
		.amdhsa_uses_dynamic_stack 0
		.amdhsa_enable_private_segment 0
		.amdhsa_system_sgpr_workgroup_id_x 1
		.amdhsa_system_sgpr_workgroup_id_y 0
		.amdhsa_system_sgpr_workgroup_id_z 0
		.amdhsa_system_sgpr_workgroup_info 0
		.amdhsa_system_vgpr_workitem_id 0
		.amdhsa_next_free_vgpr 6
		.amdhsa_next_free_sgpr 14
		.amdhsa_accum_offset 8
		.amdhsa_reserve_vcc 1
		.amdhsa_float_round_mode_32 0
		.amdhsa_float_round_mode_16_64 0
		.amdhsa_float_denorm_mode_32 3
		.amdhsa_float_denorm_mode_16_64 3
		.amdhsa_dx10_clamp 1
		.amdhsa_ieee_mode 1
		.amdhsa_fp16_overflow 0
		.amdhsa_tg_split 0
		.amdhsa_exception_fp_ieee_invalid_op 0
		.amdhsa_exception_fp_denorm_src 0
		.amdhsa_exception_fp_ieee_div_zero 0
		.amdhsa_exception_fp_ieee_overflow 0
		.amdhsa_exception_fp_ieee_underflow 0
		.amdhsa_exception_fp_ieee_inexact 0
		.amdhsa_exception_int_div_zero 0
	.end_amdhsa_kernel
	.section	.text._ZN7rocprim17ROCPRIM_304000_NS6detail31init_lookback_scan_state_kernelINS1_19lookback_scan_stateIaLb1ELb1EEEEEvT_jjPNS5_10value_typeE,"axG",@progbits,_ZN7rocprim17ROCPRIM_304000_NS6detail31init_lookback_scan_state_kernelINS1_19lookback_scan_stateIaLb1ELb1EEEEEvT_jjPNS5_10value_typeE,comdat
.Lfunc_end9:
	.size	_ZN7rocprim17ROCPRIM_304000_NS6detail31init_lookback_scan_state_kernelINS1_19lookback_scan_stateIaLb1ELb1EEEEEvT_jjPNS5_10value_typeE, .Lfunc_end9-_ZN7rocprim17ROCPRIM_304000_NS6detail31init_lookback_scan_state_kernelINS1_19lookback_scan_stateIaLb1ELb1EEEEEvT_jjPNS5_10value_typeE
                                        ; -- End function
	.section	.AMDGPU.csdata,"",@progbits
; Kernel info:
; codeLenInByte = 300
; NumSgprs: 20
; NumVgprs: 6
; NumAgprs: 0
; TotalNumVgprs: 6
; ScratchSize: 0
; MemoryBound: 0
; FloatMode: 240
; IeeeMode: 1
; LDSByteSize: 0 bytes/workgroup (compile time only)
; SGPRBlocks: 2
; VGPRBlocks: 0
; NumSGPRsForWavesPerEU: 20
; NumVGPRsForWavesPerEU: 6
; AccumOffset: 8
; Occupancy: 8
; WaveLimiterHint : 0
; COMPUTE_PGM_RSRC2:SCRATCH_EN: 0
; COMPUTE_PGM_RSRC2:USER_SGPR: 2
; COMPUTE_PGM_RSRC2:TRAP_HANDLER: 0
; COMPUTE_PGM_RSRC2:TGID_X_EN: 1
; COMPUTE_PGM_RSRC2:TGID_Y_EN: 0
; COMPUTE_PGM_RSRC2:TGID_Z_EN: 0
; COMPUTE_PGM_RSRC2:TIDIG_COMP_CNT: 0
; COMPUTE_PGM_RSRC3_GFX90A:ACCUM_OFFSET: 1
; COMPUTE_PGM_RSRC3_GFX90A:TG_SPLIT: 0
	.section	.text._ZN7rocprim17ROCPRIM_304000_NS6detail31init_lookback_scan_state_kernelINS1_19lookback_scan_stateIaLb0ELb1EEEEEvT_jjPNS5_10value_typeE,"axG",@progbits,_ZN7rocprim17ROCPRIM_304000_NS6detail31init_lookback_scan_state_kernelINS1_19lookback_scan_stateIaLb0ELb1EEEEEvT_jjPNS5_10value_typeE,comdat
	.protected	_ZN7rocprim17ROCPRIM_304000_NS6detail31init_lookback_scan_state_kernelINS1_19lookback_scan_stateIaLb0ELb1EEEEEvT_jjPNS5_10value_typeE ; -- Begin function _ZN7rocprim17ROCPRIM_304000_NS6detail31init_lookback_scan_state_kernelINS1_19lookback_scan_stateIaLb0ELb1EEEEEvT_jjPNS5_10value_typeE
	.globl	_ZN7rocprim17ROCPRIM_304000_NS6detail31init_lookback_scan_state_kernelINS1_19lookback_scan_stateIaLb0ELb1EEEEEvT_jjPNS5_10value_typeE
	.p2align	8
	.type	_ZN7rocprim17ROCPRIM_304000_NS6detail31init_lookback_scan_state_kernelINS1_19lookback_scan_stateIaLb0ELb1EEEEEvT_jjPNS5_10value_typeE,@function
_ZN7rocprim17ROCPRIM_304000_NS6detail31init_lookback_scan_state_kernelINS1_19lookback_scan_stateIaLb0ELb1EEEEEvT_jjPNS5_10value_typeE: ; @_ZN7rocprim17ROCPRIM_304000_NS6detail31init_lookback_scan_state_kernelINS1_19lookback_scan_stateIaLb0ELb1EEEEEvT_jjPNS5_10value_typeE
; %bb.0:
	s_load_dword s3, s[0:1], 0x24
	s_load_dwordx2 s[8:9], s[0:1], 0x10
	s_load_dwordx4 s[4:7], s[0:1], 0x0
	s_waitcnt lgkmcnt(0)
	s_and_b32 s0, s3, 0xffff
	s_mul_i32 s2, s2, s0
	s_cmp_eq_u64 s[8:9], 0
	v_add_u32_e32 v0, s2, v0
	s_cbranch_scc1 .LBB10_7
; %bb.1:
	s_cmp_lt_u32 s7, s6
	s_cselect_b32 s0, s7, 0
	s_mov_b32 s3, 0
	v_cmp_eq_u32_e32 vcc, s0, v0
	s_and_saveexec_b64 s[0:1], vcc
	s_cbranch_execz .LBB10_6
; %bb.2:
	s_add_i32 s2, s7, 64
	s_lshl_b64 s[2:3], s[2:3], 1
	s_add_u32 s2, s4, s2
	s_addc_u32 s3, s5, s3
	v_mov_b32_e32 v2, 0
	global_load_ushort v1, v2, s[2:3] sc1
	s_movk_i32 s7, 0xff
	s_waitcnt vmcnt(0)
	v_cmp_lt_u16_e32 vcc, s7, v1
	s_cbranch_vccnz .LBB10_5
; %bb.3:
	s_movk_i32 s7, 0x100
.LBB10_4:                               ; =>This Inner Loop Header: Depth=1
	global_load_ushort v1, v2, s[2:3] sc1
	s_waitcnt vmcnt(0)
	v_cmp_gt_u16_e32 vcc, s7, v1
	s_cbranch_vccnz .LBB10_4
.LBB10_5:
	v_mov_b32_e32 v2, 0
	global_store_byte v2, v1, s[8:9]
.LBB10_6:
	s_or_b64 exec, exec, s[0:1]
.LBB10_7:
	v_cmp_gt_u32_e32 vcc, s6, v0
	s_and_saveexec_b64 s[0:1], vcc
	s_cbranch_execnz .LBB10_10
; %bb.8:
	s_or_b64 exec, exec, s[0:1]
	v_cmp_gt_u32_e32 vcc, 64, v0
	s_and_saveexec_b64 s[0:1], vcc
	s_cbranch_execnz .LBB10_11
.LBB10_9:
	s_endpgm
.LBB10_10:
	v_add_u32_e32 v2, 64, v0
	v_mov_b32_e32 v3, 0
	v_lshl_add_u64 v[4:5], v[2:3], 1, s[4:5]
	global_store_short v[4:5], v3, off
	s_or_b64 exec, exec, s[0:1]
	v_cmp_gt_u32_e32 vcc, 64, v0
	s_and_saveexec_b64 s[0:1], vcc
	s_cbranch_execz .LBB10_9
.LBB10_11:
	v_mov_b32_e32 v1, 0
	v_lshl_add_u64 v[0:1], v[0:1], 1, s[4:5]
	v_mov_b32_e32 v2, 0xffffff00
	global_store_short v[0:1], v2, off
	s_endpgm
	.section	.rodata,"a",@progbits
	.p2align	6, 0x0
	.amdhsa_kernel _ZN7rocprim17ROCPRIM_304000_NS6detail31init_lookback_scan_state_kernelINS1_19lookback_scan_stateIaLb0ELb1EEEEEvT_jjPNS5_10value_typeE
		.amdhsa_group_segment_fixed_size 0
		.amdhsa_private_segment_fixed_size 0
		.amdhsa_kernarg_size 280
		.amdhsa_user_sgpr_count 2
		.amdhsa_user_sgpr_dispatch_ptr 0
		.amdhsa_user_sgpr_queue_ptr 0
		.amdhsa_user_sgpr_kernarg_segment_ptr 1
		.amdhsa_user_sgpr_dispatch_id 0
		.amdhsa_user_sgpr_kernarg_preload_length 0
		.amdhsa_user_sgpr_kernarg_preload_offset 0
		.amdhsa_user_sgpr_private_segment_size 0
		.amdhsa_uses_dynamic_stack 0
		.amdhsa_enable_private_segment 0
		.amdhsa_system_sgpr_workgroup_id_x 1
		.amdhsa_system_sgpr_workgroup_id_y 0
		.amdhsa_system_sgpr_workgroup_id_z 0
		.amdhsa_system_sgpr_workgroup_info 0
		.amdhsa_system_vgpr_workitem_id 0
		.amdhsa_next_free_vgpr 6
		.amdhsa_next_free_sgpr 10
		.amdhsa_accum_offset 8
		.amdhsa_reserve_vcc 1
		.amdhsa_float_round_mode_32 0
		.amdhsa_float_round_mode_16_64 0
		.amdhsa_float_denorm_mode_32 3
		.amdhsa_float_denorm_mode_16_64 3
		.amdhsa_dx10_clamp 1
		.amdhsa_ieee_mode 1
		.amdhsa_fp16_overflow 0
		.amdhsa_tg_split 0
		.amdhsa_exception_fp_ieee_invalid_op 0
		.amdhsa_exception_fp_denorm_src 0
		.amdhsa_exception_fp_ieee_div_zero 0
		.amdhsa_exception_fp_ieee_overflow 0
		.amdhsa_exception_fp_ieee_underflow 0
		.amdhsa_exception_fp_ieee_inexact 0
		.amdhsa_exception_int_div_zero 0
	.end_amdhsa_kernel
	.section	.text._ZN7rocprim17ROCPRIM_304000_NS6detail31init_lookback_scan_state_kernelINS1_19lookback_scan_stateIaLb0ELb1EEEEEvT_jjPNS5_10value_typeE,"axG",@progbits,_ZN7rocprim17ROCPRIM_304000_NS6detail31init_lookback_scan_state_kernelINS1_19lookback_scan_stateIaLb0ELb1EEEEEvT_jjPNS5_10value_typeE,comdat
.Lfunc_end10:
	.size	_ZN7rocprim17ROCPRIM_304000_NS6detail31init_lookback_scan_state_kernelINS1_19lookback_scan_stateIaLb0ELb1EEEEEvT_jjPNS5_10value_typeE, .Lfunc_end10-_ZN7rocprim17ROCPRIM_304000_NS6detail31init_lookback_scan_state_kernelINS1_19lookback_scan_stateIaLb0ELb1EEEEEvT_jjPNS5_10value_typeE
                                        ; -- End function
	.section	.AMDGPU.csdata,"",@progbits
; Kernel info:
; codeLenInByte = 264
; NumSgprs: 16
; NumVgprs: 6
; NumAgprs: 0
; TotalNumVgprs: 6
; ScratchSize: 0
; MemoryBound: 0
; FloatMode: 240
; IeeeMode: 1
; LDSByteSize: 0 bytes/workgroup (compile time only)
; SGPRBlocks: 1
; VGPRBlocks: 0
; NumSGPRsForWavesPerEU: 16
; NumVGPRsForWavesPerEU: 6
; AccumOffset: 8
; Occupancy: 8
; WaveLimiterHint : 0
; COMPUTE_PGM_RSRC2:SCRATCH_EN: 0
; COMPUTE_PGM_RSRC2:USER_SGPR: 2
; COMPUTE_PGM_RSRC2:TRAP_HANDLER: 0
; COMPUTE_PGM_RSRC2:TGID_X_EN: 1
; COMPUTE_PGM_RSRC2:TGID_Y_EN: 0
; COMPUTE_PGM_RSRC2:TGID_Z_EN: 0
; COMPUTE_PGM_RSRC2:TIDIG_COMP_CNT: 0
; COMPUTE_PGM_RSRC3_GFX90A:ACCUM_OFFSET: 1
; COMPUTE_PGM_RSRC3_GFX90A:TG_SPLIT: 0
	.section	.text._ZN7rocprim17ROCPRIM_304000_NS6detail20lookback_scan_kernelILNS1_25lookback_scan_determinismE0ELb0ENS1_19wrapped_scan_configINS0_14default_configEaEEPKaPaSt10multipliesIaEaaNS1_19lookback_scan_stateIaLb1ELb1EEEEEvT2_T3_mT5_T4_T7_jPT6_SK_bb,"axG",@progbits,_ZN7rocprim17ROCPRIM_304000_NS6detail20lookback_scan_kernelILNS1_25lookback_scan_determinismE0ELb0ENS1_19wrapped_scan_configINS0_14default_configEaEEPKaPaSt10multipliesIaEaaNS1_19lookback_scan_stateIaLb1ELb1EEEEEvT2_T3_mT5_T4_T7_jPT6_SK_bb,comdat
	.protected	_ZN7rocprim17ROCPRIM_304000_NS6detail20lookback_scan_kernelILNS1_25lookback_scan_determinismE0ELb0ENS1_19wrapped_scan_configINS0_14default_configEaEEPKaPaSt10multipliesIaEaaNS1_19lookback_scan_stateIaLb1ELb1EEEEEvT2_T3_mT5_T4_T7_jPT6_SK_bb ; -- Begin function _ZN7rocprim17ROCPRIM_304000_NS6detail20lookback_scan_kernelILNS1_25lookback_scan_determinismE0ELb0ENS1_19wrapped_scan_configINS0_14default_configEaEEPKaPaSt10multipliesIaEaaNS1_19lookback_scan_stateIaLb1ELb1EEEEEvT2_T3_mT5_T4_T7_jPT6_SK_bb
	.globl	_ZN7rocprim17ROCPRIM_304000_NS6detail20lookback_scan_kernelILNS1_25lookback_scan_determinismE0ELb0ENS1_19wrapped_scan_configINS0_14default_configEaEEPKaPaSt10multipliesIaEaaNS1_19lookback_scan_stateIaLb1ELb1EEEEEvT2_T3_mT5_T4_T7_jPT6_SK_bb
	.p2align	8
	.type	_ZN7rocprim17ROCPRIM_304000_NS6detail20lookback_scan_kernelILNS1_25lookback_scan_determinismE0ELb0ENS1_19wrapped_scan_configINS0_14default_configEaEEPKaPaSt10multipliesIaEaaNS1_19lookback_scan_stateIaLb1ELb1EEEEEvT2_T3_mT5_T4_T7_jPT6_SK_bb,@function
_ZN7rocprim17ROCPRIM_304000_NS6detail20lookback_scan_kernelILNS1_25lookback_scan_determinismE0ELb0ENS1_19wrapped_scan_configINS0_14default_configEaEEPKaPaSt10multipliesIaEaaNS1_19lookback_scan_stateIaLb1ELb1EEEEEvT2_T3_mT5_T4_T7_jPT6_SK_bb: ; @_ZN7rocprim17ROCPRIM_304000_NS6detail20lookback_scan_kernelILNS1_25lookback_scan_determinismE0ELb0ENS1_19wrapped_scan_configINS0_14default_configEaEEPKaPaSt10multipliesIaEaaNS1_19lookback_scan_stateIaLb1ELb1EEEEEvT2_T3_mT5_T4_T7_jPT6_SK_bb
; %bb.0:
	s_endpgm
	.section	.rodata,"a",@progbits
	.p2align	6, 0x0
	.amdhsa_kernel _ZN7rocprim17ROCPRIM_304000_NS6detail20lookback_scan_kernelILNS1_25lookback_scan_determinismE0ELb0ENS1_19wrapped_scan_configINS0_14default_configEaEEPKaPaSt10multipliesIaEaaNS1_19lookback_scan_stateIaLb1ELb1EEEEEvT2_T3_mT5_T4_T7_jPT6_SK_bb
		.amdhsa_group_segment_fixed_size 0
		.amdhsa_private_segment_fixed_size 0
		.amdhsa_kernarg_size 68
		.amdhsa_user_sgpr_count 2
		.amdhsa_user_sgpr_dispatch_ptr 0
		.amdhsa_user_sgpr_queue_ptr 0
		.amdhsa_user_sgpr_kernarg_segment_ptr 1
		.amdhsa_user_sgpr_dispatch_id 0
		.amdhsa_user_sgpr_kernarg_preload_length 0
		.amdhsa_user_sgpr_kernarg_preload_offset 0
		.amdhsa_user_sgpr_private_segment_size 0
		.amdhsa_uses_dynamic_stack 0
		.amdhsa_enable_private_segment 0
		.amdhsa_system_sgpr_workgroup_id_x 1
		.amdhsa_system_sgpr_workgroup_id_y 0
		.amdhsa_system_sgpr_workgroup_id_z 0
		.amdhsa_system_sgpr_workgroup_info 0
		.amdhsa_system_vgpr_workitem_id 0
		.amdhsa_next_free_vgpr 1
		.amdhsa_next_free_sgpr 0
		.amdhsa_accum_offset 4
		.amdhsa_reserve_vcc 0
		.amdhsa_float_round_mode_32 0
		.amdhsa_float_round_mode_16_64 0
		.amdhsa_float_denorm_mode_32 3
		.amdhsa_float_denorm_mode_16_64 3
		.amdhsa_dx10_clamp 1
		.amdhsa_ieee_mode 1
		.amdhsa_fp16_overflow 0
		.amdhsa_tg_split 0
		.amdhsa_exception_fp_ieee_invalid_op 0
		.amdhsa_exception_fp_denorm_src 0
		.amdhsa_exception_fp_ieee_div_zero 0
		.amdhsa_exception_fp_ieee_overflow 0
		.amdhsa_exception_fp_ieee_underflow 0
		.amdhsa_exception_fp_ieee_inexact 0
		.amdhsa_exception_int_div_zero 0
	.end_amdhsa_kernel
	.section	.text._ZN7rocprim17ROCPRIM_304000_NS6detail20lookback_scan_kernelILNS1_25lookback_scan_determinismE0ELb0ENS1_19wrapped_scan_configINS0_14default_configEaEEPKaPaSt10multipliesIaEaaNS1_19lookback_scan_stateIaLb1ELb1EEEEEvT2_T3_mT5_T4_T7_jPT6_SK_bb,"axG",@progbits,_ZN7rocprim17ROCPRIM_304000_NS6detail20lookback_scan_kernelILNS1_25lookback_scan_determinismE0ELb0ENS1_19wrapped_scan_configINS0_14default_configEaEEPKaPaSt10multipliesIaEaaNS1_19lookback_scan_stateIaLb1ELb1EEEEEvT2_T3_mT5_T4_T7_jPT6_SK_bb,comdat
.Lfunc_end11:
	.size	_ZN7rocprim17ROCPRIM_304000_NS6detail20lookback_scan_kernelILNS1_25lookback_scan_determinismE0ELb0ENS1_19wrapped_scan_configINS0_14default_configEaEEPKaPaSt10multipliesIaEaaNS1_19lookback_scan_stateIaLb1ELb1EEEEEvT2_T3_mT5_T4_T7_jPT6_SK_bb, .Lfunc_end11-_ZN7rocprim17ROCPRIM_304000_NS6detail20lookback_scan_kernelILNS1_25lookback_scan_determinismE0ELb0ENS1_19wrapped_scan_configINS0_14default_configEaEEPKaPaSt10multipliesIaEaaNS1_19lookback_scan_stateIaLb1ELb1EEEEEvT2_T3_mT5_T4_T7_jPT6_SK_bb
                                        ; -- End function
	.section	.AMDGPU.csdata,"",@progbits
; Kernel info:
; codeLenInByte = 4
; NumSgprs: 6
; NumVgprs: 0
; NumAgprs: 0
; TotalNumVgprs: 0
; ScratchSize: 0
; MemoryBound: 0
; FloatMode: 240
; IeeeMode: 1
; LDSByteSize: 0 bytes/workgroup (compile time only)
; SGPRBlocks: 0
; VGPRBlocks: 0
; NumSGPRsForWavesPerEU: 6
; NumVGPRsForWavesPerEU: 1
; AccumOffset: 4
; Occupancy: 8
; WaveLimiterHint : 0
; COMPUTE_PGM_RSRC2:SCRATCH_EN: 0
; COMPUTE_PGM_RSRC2:USER_SGPR: 2
; COMPUTE_PGM_RSRC2:TRAP_HANDLER: 0
; COMPUTE_PGM_RSRC2:TGID_X_EN: 1
; COMPUTE_PGM_RSRC2:TGID_Y_EN: 0
; COMPUTE_PGM_RSRC2:TGID_Z_EN: 0
; COMPUTE_PGM_RSRC2:TIDIG_COMP_CNT: 0
; COMPUTE_PGM_RSRC3_GFX90A:ACCUM_OFFSET: 0
; COMPUTE_PGM_RSRC3_GFX90A:TG_SPLIT: 0
	.section	.text._ZN7rocprim17ROCPRIM_304000_NS6detail20lookback_scan_kernelILNS1_25lookback_scan_determinismE0ELb0ENS1_19wrapped_scan_configINS0_14default_configEaEEPKaPaSt10multipliesIaEaaNS1_19lookback_scan_stateIaLb0ELb1EEEEEvT2_T3_mT5_T4_T7_jPT6_SK_bb,"axG",@progbits,_ZN7rocprim17ROCPRIM_304000_NS6detail20lookback_scan_kernelILNS1_25lookback_scan_determinismE0ELb0ENS1_19wrapped_scan_configINS0_14default_configEaEEPKaPaSt10multipliesIaEaaNS1_19lookback_scan_stateIaLb0ELb1EEEEEvT2_T3_mT5_T4_T7_jPT6_SK_bb,comdat
	.protected	_ZN7rocprim17ROCPRIM_304000_NS6detail20lookback_scan_kernelILNS1_25lookback_scan_determinismE0ELb0ENS1_19wrapped_scan_configINS0_14default_configEaEEPKaPaSt10multipliesIaEaaNS1_19lookback_scan_stateIaLb0ELb1EEEEEvT2_T3_mT5_T4_T7_jPT6_SK_bb ; -- Begin function _ZN7rocprim17ROCPRIM_304000_NS6detail20lookback_scan_kernelILNS1_25lookback_scan_determinismE0ELb0ENS1_19wrapped_scan_configINS0_14default_configEaEEPKaPaSt10multipliesIaEaaNS1_19lookback_scan_stateIaLb0ELb1EEEEEvT2_T3_mT5_T4_T7_jPT6_SK_bb
	.globl	_ZN7rocprim17ROCPRIM_304000_NS6detail20lookback_scan_kernelILNS1_25lookback_scan_determinismE0ELb0ENS1_19wrapped_scan_configINS0_14default_configEaEEPKaPaSt10multipliesIaEaaNS1_19lookback_scan_stateIaLb0ELb1EEEEEvT2_T3_mT5_T4_T7_jPT6_SK_bb
	.p2align	8
	.type	_ZN7rocprim17ROCPRIM_304000_NS6detail20lookback_scan_kernelILNS1_25lookback_scan_determinismE0ELb0ENS1_19wrapped_scan_configINS0_14default_configEaEEPKaPaSt10multipliesIaEaaNS1_19lookback_scan_stateIaLb0ELb1EEEEEvT2_T3_mT5_T4_T7_jPT6_SK_bb,@function
_ZN7rocprim17ROCPRIM_304000_NS6detail20lookback_scan_kernelILNS1_25lookback_scan_determinismE0ELb0ENS1_19wrapped_scan_configINS0_14default_configEaEEPKaPaSt10multipliesIaEaaNS1_19lookback_scan_stateIaLb0ELb1EEEEEvT2_T3_mT5_T4_T7_jPT6_SK_bb: ; @_ZN7rocprim17ROCPRIM_304000_NS6detail20lookback_scan_kernelILNS1_25lookback_scan_determinismE0ELb0ENS1_19wrapped_scan_configINS0_14default_configEaEEPKaPaSt10multipliesIaEaaNS1_19lookback_scan_stateIaLb0ELb1EEEEEvT2_T3_mT5_T4_T7_jPT6_SK_bb
; %bb.0:
	s_load_dword s3, s[0:1], 0x28
	s_load_dwordx2 s[4:5], s[0:1], 0x10
	s_load_dwordx4 s[12:15], s[0:1], 0x0
	s_mul_i32 s22, s2, 0x1800
	s_waitcnt lgkmcnt(0)
	s_add_i32 s3, s3, -1
	s_mul_i32 s6, s3, 0x1800
	s_sub_u32 s20, s4, s6
	s_subb_u32 s21, s5, 0
	s_cmp_lg_u32 s2, s3
	s_cselect_b64 s[16:17], -1, 0
	s_add_u32 s6, s12, s22
	s_addc_u32 s7, s13, 0
	s_mov_b64 s[4:5], -1
	s_and_b64 vcc, exec, s[16:17]
	s_cbranch_vccz .LBB12_2
; %bb.1:
	v_mov_b32_e32 v1, 0
	v_lshl_add_u64 v[2:3], s[6:7], 0, v[0:1]
	s_movk_i32 s3, 0x1000
	v_add_co_u32_e32 v2, vcc, s3, v2
	global_load_ubyte v1, v0, s[6:7]
	global_load_ubyte v4, v0, s[6:7] offset:256
	global_load_ubyte v5, v0, s[6:7] offset:512
	;; [unrolled: 1-line block ×15, first 2 shown]
	v_addc_co_u32_e32 v3, vcc, 0, v3, vcc
	global_load_ubyte v19, v[2:3], off
	global_load_ubyte v20, v[2:3], off offset:256
	global_load_ubyte v21, v[2:3], off offset:512
	;; [unrolled: 1-line block ×7, first 2 shown]
	s_mov_b64 s[4:5], 0
	s_waitcnt vmcnt(23)
	ds_write_b8 v0, v1
	s_waitcnt vmcnt(22)
	ds_write_b8 v0, v4 offset:256
	s_waitcnt vmcnt(21)
	ds_write_b8 v0, v5 offset:512
	s_waitcnt vmcnt(20)
	ds_write_b8 v0, v6 offset:768
	s_waitcnt vmcnt(19)
	ds_write_b8 v0, v7 offset:1024
	s_waitcnt vmcnt(18)
	ds_write_b8 v0, v8 offset:1280
	s_waitcnt vmcnt(17)
	ds_write_b8 v0, v9 offset:1536
	s_waitcnt vmcnt(16)
	ds_write_b8 v0, v10 offset:1792
	s_waitcnt vmcnt(15)
	ds_write_b8 v0, v11 offset:2048
	s_waitcnt vmcnt(14)
	ds_write_b8 v0, v12 offset:2304
	s_waitcnt vmcnt(13)
	ds_write_b8 v0, v13 offset:2560
	s_waitcnt vmcnt(12)
	ds_write_b8 v0, v14 offset:2816
	s_waitcnt vmcnt(11)
	ds_write_b8 v0, v15 offset:3072
	s_waitcnt vmcnt(10)
	ds_write_b8 v0, v16 offset:3328
	s_waitcnt vmcnt(9)
	ds_write_b8 v0, v17 offset:3584
	s_waitcnt vmcnt(8)
	ds_write_b8 v0, v18 offset:3840
	s_waitcnt vmcnt(7)
	ds_write_b8 v0, v19 offset:4096
	s_waitcnt vmcnt(6)
	ds_write_b8 v0, v20 offset:4352
	s_waitcnt vmcnt(5)
	ds_write_b8 v0, v21 offset:4608
	s_waitcnt vmcnt(4)
	ds_write_b8 v0, v22 offset:4864
	s_waitcnt vmcnt(3)
	ds_write_b8 v0, v23 offset:5120
	s_waitcnt vmcnt(2)
	ds_write_b8 v0, v24 offset:5376
	s_waitcnt vmcnt(1)
	ds_write_b8 v0, v25 offset:5632
	s_waitcnt vmcnt(0)
	ds_write_b8 v0, v26 offset:5888
	s_waitcnt lgkmcnt(0)
	s_barrier
.LBB12_2:
	s_andn2_b64 vcc, exec, s[4:5]
	v_cmp_gt_u32_e64 s[4:5], s20, v0
	s_cbranch_vccnz .LBB12_52
; %bb.3:
	v_mov_b32_e32 v1, 0
	global_load_ubyte v4, v1, s[6:7]
	v_lshl_add_u64 v[2:3], s[6:7], 0, v[0:1]
	s_waitcnt vmcnt(0)
	v_mov_b32_e32 v1, v4
	s_and_saveexec_b64 s[6:7], s[4:5]
	s_cbranch_execz .LBB12_5
; %bb.4:
	global_load_ubyte v1, v[2:3], off
.LBB12_5:
	s_or_b64 exec, exec, s[6:7]
	v_or_b32_e32 v5, 0x100, v0
	v_cmp_gt_u32_e32 vcc, s20, v5
	v_mov_b32_e32 v5, v4
	s_and_saveexec_b64 s[4:5], vcc
	s_cbranch_execz .LBB12_7
; %bb.6:
	global_load_ubyte v5, v[2:3], off offset:256
.LBB12_7:
	s_or_b64 exec, exec, s[4:5]
	v_or_b32_e32 v6, 0x200, v0
	v_cmp_gt_u32_e32 vcc, s20, v6
	v_mov_b32_e32 v6, v4
	s_and_saveexec_b64 s[4:5], vcc
	s_cbranch_execz .LBB12_9
; %bb.8:
	global_load_ubyte v6, v[2:3], off offset:512
.LBB12_9:
	;; [unrolled: 9-line block ×15, first 2 shown]
	s_or_b64 exec, exec, s[4:5]
	v_or_b32_e32 v20, 0x1000, v0
	v_cmp_gt_u32_e32 vcc, s20, v20
	v_mov_b32_e32 v20, v4
	s_and_saveexec_b64 s[4:5], vcc
	s_cbranch_execz .LBB12_37
; %bb.36:
	v_add_co_u32_e32 v20, vcc, 0x1000, v2
	s_nop 1
	v_addc_co_u32_e32 v21, vcc, 0, v3, vcc
	global_load_ubyte v20, v[20:21], off
.LBB12_37:
	s_or_b64 exec, exec, s[4:5]
	v_or_b32_e32 v21, 0x1100, v0
	v_cmp_gt_u32_e32 vcc, s20, v21
	v_mov_b32_e32 v21, v4
	s_and_saveexec_b64 s[4:5], vcc
	s_cbranch_execz .LBB12_39
; %bb.38:
	v_add_co_u32_e32 v22, vcc, 0x1000, v2
	s_nop 1
	v_addc_co_u32_e32 v23, vcc, 0, v3, vcc
	global_load_ubyte v21, v[22:23], off offset:256
.LBB12_39:
	s_or_b64 exec, exec, s[4:5]
	v_or_b32_e32 v22, 0x1200, v0
	v_cmp_gt_u32_e32 vcc, s20, v22
	v_mov_b32_e32 v22, v4
	s_and_saveexec_b64 s[4:5], vcc
	s_cbranch_execz .LBB12_41
; %bb.40:
	v_add_co_u32_e32 v22, vcc, 0x1000, v2
	s_nop 1
	v_addc_co_u32_e32 v23, vcc, 0, v3, vcc
	global_load_ubyte v22, v[22:23], off offset:512
.LBB12_41:
	;; [unrolled: 12-line block ×6, first 2 shown]
	s_or_b64 exec, exec, s[4:5]
	v_or_b32_e32 v27, 0x1700, v0
	v_cmp_gt_u32_e32 vcc, s20, v27
	s_and_saveexec_b64 s[4:5], vcc
	s_cbranch_execz .LBB12_51
; %bb.50:
	v_add_co_u32_e32 v2, vcc, 0x1000, v2
	s_nop 1
	v_addc_co_u32_e32 v3, vcc, 0, v3, vcc
	global_load_ubyte v4, v[2:3], off offset:1792
.LBB12_51:
	s_or_b64 exec, exec, s[4:5]
	s_waitcnt vmcnt(0)
	ds_write_b8 v0, v1
	ds_write_b8 v0, v5 offset:256
	ds_write_b8 v0, v6 offset:512
	;; [unrolled: 1-line block ×23, first 2 shown]
	s_waitcnt lgkmcnt(0)
	s_barrier
.LBB12_52:
	v_mul_u32_u24_e32 v14, 24, v0
	ds_read2_b64 v[2:5], v14 offset1:1
	ds_read_b64 v[6:7], v14 offset:16
	s_load_dwordx2 s[12:13], s[0:1], 0x20
	s_cmp_lg_u32 s2, 0
	v_mbcnt_lo_u32_b32 v22, -1, 0
	s_waitcnt lgkmcnt(0)
	v_lshrrev_b32_e32 v19, 8, v2
	v_lshrrev_b32_e32 v18, 8, v3
	;; [unrolled: 1-line block ×7, first 2 shown]
	v_or_b32_e32 v21, 63, v0
	s_barrier
	s_cbranch_scc0 .LBB12_79
; %bb.53:
	v_mul_lo_u16_e32 v8, v19, v2
	v_mul_lo_u16_sdwa v8, v8, v2 dst_sel:DWORD dst_unused:UNUSED_PAD src0_sel:DWORD src1_sel:WORD_1
	v_mul_lo_u16_sdwa v8, v8, v2 dst_sel:DWORD dst_unused:UNUSED_PAD src0_sel:DWORD src1_sel:BYTE_3
	v_mul_lo_u16_e32 v8, v8, v3
	v_mul_lo_u16_e32 v8, v8, v18
	v_mul_lo_u16_sdwa v8, v8, v3 dst_sel:DWORD dst_unused:UNUSED_PAD src0_sel:DWORD src1_sel:WORD_1
	v_mul_lo_u16_sdwa v8, v8, v3 dst_sel:DWORD dst_unused:UNUSED_PAD src0_sel:DWORD src1_sel:BYTE_3
	v_mul_lo_u16_e32 v8, v8, v4
	;; [unrolled: 4-line block ×5, first 2 shown]
	v_mul_lo_u16_e32 v8, v8, v1
	v_mul_lo_u16_sdwa v8, v8, v7 dst_sel:DWORD dst_unused:UNUSED_PAD src0_sel:DWORD src1_sel:WORD_1
	v_mul_lo_u16_sdwa v8, v8, v7 dst_sel:DWORD dst_unused:UNUSED_PAD src0_sel:DWORD src1_sel:BYTE_3
	v_and_b32_e32 v11, 0xff, v8
	v_mbcnt_hi_u32_b32 v9, -1, v22
	v_and_b32_e32 v10, 15, v9
	v_mov_b32_dpp v12, v11 row_shr:1 row_mask:0xf bank_mask:0xf
	v_mul_lo_u16_e32 v12, v8, v12
	v_and_b32_e32 v13, 0xff, v12
	v_cmp_eq_u32_e32 vcc, 0, v10
	s_nop 1
	v_cndmask_b32_e32 v11, v13, v11, vcc
	v_cndmask_b32_e32 v8, v12, v8, vcc
	v_cmp_lt_u32_e32 vcc, 1, v10
	v_mov_b32_dpp v12, v11 row_shr:2 row_mask:0xf bank_mask:0xf
	v_mul_lo_u16_e32 v12, v8, v12
	v_and_b32_e32 v13, 0xff, v12
	v_cndmask_b32_e32 v11, v11, v13, vcc
	v_cndmask_b32_e32 v8, v8, v12, vcc
	v_cmp_lt_u32_e32 vcc, 3, v10
	v_mov_b32_dpp v12, v11 row_shr:4 row_mask:0xf bank_mask:0xf
	v_mul_lo_u16_e32 v12, v8, v12
	v_and_b32_e32 v13, 0xff, v12
	;; [unrolled: 6-line block ×3, first 2 shown]
	v_cndmask_b32_e32 v10, v11, v13, vcc
	v_cndmask_b32_e32 v8, v8, v12, vcc
	v_and_b32_e32 v12, 16, v9
	v_mov_b32_dpp v11, v10 row_bcast:15 row_mask:0xf bank_mask:0xf
	v_mul_lo_u16_e32 v11, v8, v11
	v_and_b32_e32 v13, 0xff, v11
	v_cmp_eq_u32_e32 vcc, 0, v12
	s_nop 1
	v_cndmask_b32_e32 v10, v13, v10, vcc
	v_cndmask_b32_e32 v8, v11, v8, vcc
	v_cmp_lt_u32_e32 vcc, 31, v9
	v_mov_b32_dpp v10, v10 row_bcast:31 row_mask:0xf bank_mask:0xf
	s_nop 0
	v_cndmask_b32_e32 v10, 1, v10, vcc
	v_mul_lo_u16_e32 v8, v8, v10
	v_cmp_eq_u32_e32 vcc, v21, v0
	s_and_saveexec_b64 s[4:5], vcc
	s_cbranch_execz .LBB12_55
; %bb.54:
	ds_write_b8 v20, v8
.LBB12_55:
	s_or_b64 exec, exec, s[4:5]
	v_cmp_gt_u32_e32 vcc, 4, v0
	s_waitcnt lgkmcnt(0)
	s_barrier
	s_and_saveexec_b64 s[4:5], vcc
	s_cbranch_execz .LBB12_57
; %bb.56:
	ds_read_u8 v10, v0
	v_and_b32_e32 v11, 3, v9
	v_cmp_eq_u32_e32 vcc, 0, v11
	s_waitcnt lgkmcnt(0)
	v_and_b32_e32 v12, 0xff, v10
	s_nop 1
	v_mov_b32_dpp v13, v12 row_shr:1 row_mask:0xf bank_mask:0xf
	v_mul_lo_u16_e32 v13, v10, v13
	v_and_b32_e32 v23, 0xff, v13
	v_cndmask_b32_e32 v12, v23, v12, vcc
	v_cndmask_b32_e32 v10, v13, v10, vcc
	v_cmp_lt_u32_e32 vcc, 1, v11
	v_mov_b32_dpp v12, v12 row_shr:2 row_mask:0xf bank_mask:0xf
	s_nop 0
	v_cndmask_b32_e32 v11, 1, v12, vcc
	v_mul_lo_u16_e32 v10, v10, v11
	ds_write_b8 v0, v10
.LBB12_57:
	s_or_b64 exec, exec, s[4:5]
	v_cmp_gt_u32_e32 vcc, 64, v0
	v_cmp_lt_u32_e64 s[4:5], 63, v0
	s_waitcnt lgkmcnt(0)
	s_barrier
	s_waitcnt lgkmcnt(0)
                                        ; implicit-def: $vgpr23
	s_and_saveexec_b64 s[6:7], s[4:5]
	s_cbranch_execz .LBB12_59
; %bb.58:
	v_add_u32_e32 v10, -1, v20
	ds_read_u8 v23, v10
	s_waitcnt lgkmcnt(0)
	v_mul_lo_u16_e32 v8, v23, v8
.LBB12_59:
	s_or_b64 exec, exec, s[6:7]
	v_add_u32_e32 v10, -1, v9
	v_and_b32_e32 v11, 64, v9
	v_cmp_lt_i32_e64 s[4:5], v10, v11
	v_and_b32_e32 v8, 0xff, v8
	s_nop 0
	v_cndmask_b32_e64 v10, v10, v9, s[4:5]
	v_lshlrev_b32_e32 v10, 2, v10
	ds_bpermute_b32 v24, v10, v8
	v_cmp_eq_u32_e64 s[4:5], 0, v9
	s_and_saveexec_b64 s[18:19], vcc
	s_cbranch_execz .LBB12_78
; %bb.60:
	v_mov_b32_e32 v11, 0
	ds_read_u8 v25, v11 offset:3
	s_and_saveexec_b64 s[6:7], s[4:5]
	s_cbranch_execz .LBB12_62
; %bb.61:
	s_add_i32 s8, s2, 64
	s_mov_b32 s9, 0
	s_lshl_b64 s[8:9], s[8:9], 1
	s_add_u32 s8, s12, s8
	s_movk_i32 s3, 0x100
	s_addc_u32 s9, s13, s9
	s_waitcnt lgkmcnt(0)
	v_or_b32_sdwa v8, v25, s3 dst_sel:DWORD dst_unused:UNUSED_PAD src0_sel:BYTE_0 src1_sel:DWORD
	global_store_short v11, v8, s[8:9] sc1
.LBB12_62:
	s_or_b64 exec, exec, s[6:7]
	v_xad_u32 v8, v9, -1, s2
	v_add_u32_e32 v10, 64, v8
	v_lshl_add_u64 v[10:11], v[10:11], 1, s[12:13]
	global_load_ushort v12, v[10:11], off sc1
	s_waitcnt vmcnt(0)
	v_lshrrev_b16_e32 v26, 8, v12
	v_cmp_eq_u16_e32 vcc, 0, v26
	s_and_saveexec_b64 s[6:7], vcc
	s_cbranch_execz .LBB12_66
; %bb.63:
	s_mov_b64 s[8:9], 0
	v_mov_b32_e32 v13, 0
.LBB12_64:                              ; =>This Inner Loop Header: Depth=1
	global_load_ushort v12, v[10:11], off sc1
	s_waitcnt vmcnt(0)
	v_cmp_ne_u16_sdwa s[10:11], v12, v13 src0_sel:BYTE_1 src1_sel:DWORD
	s_or_b64 s[8:9], s[10:11], s[8:9]
	v_lshrrev_b16_e32 v26, 8, v12
	s_andn2_b64 exec, exec, s[8:9]
	s_cbranch_execnz .LBB12_64
; %bb.65:
	s_or_b64 exec, exec, s[8:9]
.LBB12_66:
	s_or_b64 exec, exec, s[6:7]
	v_cmp_eq_u16_e32 vcc, 2, v26
	v_lshlrev_b64 v[10:11], v9, -1
	v_and_b32_e32 v37, 63, v9
	v_and_b32_e32 v13, vcc_hi, v11
	v_and_b32_e32 v28, vcc_lo, v10
	v_cmp_ne_u32_e32 vcc, 63, v37
	v_and_b32_e32 v29, 0xff, v12
	v_or_b32_e32 v13, 0x80000000, v13
	v_addc_co_u32_e32 v27, vcc, 0, v9, vcc
	v_lshlrev_b32_e32 v27, 2, v27
	ds_bpermute_b32 v30, v27, v29
	v_ffbl_b32_e32 v13, v13
	v_add_u32_e32 v13, 32, v13
	v_ffbl_b32_e32 v28, v28
	v_min_u32_e32 v13, v28, v13
	v_add_u32_e32 v28, 1, v9
	s_waitcnt lgkmcnt(0)
	v_mul_lo_u16_e32 v30, v12, v30
	v_and_b32_e32 v31, 0xff, v30
	v_cmp_le_u32_e32 vcc, v28, v13
	v_cmp_gt_u32_e64 s[6:7], 62, v37
	v_cmp_gt_u32_e64 s[8:9], 60, v37
	v_cndmask_b32_e32 v31, v29, v31, vcc
	v_cndmask_b32_e64 v29, 0, 1, s[6:7]
	v_lshlrev_b32_e32 v29, 1, v29
	v_add_lshl_u32 v29, v29, v9, 2
	ds_bpermute_b32 v32, v29, v31
	v_cndmask_b32_e32 v33, v12, v30, vcc
	v_add_u32_e32 v30, 2, v9
	v_cmp_le_u32_e64 s[6:7], v30, v13
	v_cmp_gt_u32_e64 s[10:11], 56, v37
	s_waitcnt lgkmcnt(0)
	v_mul_lo_u16_e32 v32, v33, v32
	v_and_b32_e32 v34, 0xff, v32
	v_cndmask_b32_e64 v34, v31, v34, s[6:7]
	v_cndmask_b32_e64 v31, 0, 1, s[8:9]
	v_lshlrev_b32_e32 v31, 2, v31
	v_add_lshl_u32 v31, v31, v9, 2
	ds_bpermute_b32 v35, v31, v34
	v_cndmask_b32_e64 v36, v33, v32, s[6:7]
	v_add_u32_e32 v32, 4, v9
	v_cmp_le_u32_e64 s[8:9], v32, v13
	s_waitcnt lgkmcnt(0)
	v_mul_lo_u16_e32 v35, v36, v35
	v_and_b32_e32 v33, 0xff, v35
	v_cndmask_b32_e64 v38, v34, v33, s[8:9]
	v_cndmask_b32_e64 v33, 0, 1, s[10:11]
	v_lshlrev_b32_e32 v33, 3, v33
	v_add_lshl_u32 v33, v33, v9, 2
	ds_bpermute_b32 v39, v33, v38
	v_cndmask_b32_e64 v36, v36, v35, s[8:9]
	v_add_u32_e32 v34, 8, v9
	s_or_b64 s[10:11], vcc, s[6:7]
	v_cmp_le_u32_e32 vcc, v34, v13
	s_waitcnt lgkmcnt(0)
	v_mul_lo_u16_e32 v39, v36, v39
	v_and_b32_e32 v35, 0xff, v39
	v_cmp_gt_u32_e64 s[6:7], 48, v37
	v_cndmask_b32_e32 v38, v38, v35, vcc
	v_cndmask_b32_e32 v41, v36, v39, vcc
	v_cndmask_b32_e64 v35, 0, 1, s[6:7]
	v_lshlrev_b32_e32 v35, 4, v35
	v_add_lshl_u32 v35, v35, v9, 2
	ds_bpermute_b32 v40, v35, v38
	s_or_b64 s[6:7], s[8:9], s[10:11]
	s_or_b64 s[8:9], vcc, s[6:7]
	v_cmp_gt_u32_e64 s[6:7], 32, v37
	v_add_u32_e32 v36, 16, v9
	s_waitcnt lgkmcnt(0)
	v_mul_lo_u16_e32 v40, v41, v40
	v_cndmask_b32_e64 v37, 0, 1, s[6:7]
	v_and_b32_e32 v39, 0xff, v40
	v_cmp_le_u32_e32 vcc, v36, v13
	v_lshlrev_b32_e32 v37, 5, v37
	s_or_b64 s[6:7], vcc, s[8:9]
	v_cndmask_b32_e32 v39, v38, v39, vcc
	v_add_lshl_u32 v38, v37, v9, 2
	ds_bpermute_b32 v37, v38, v39
	v_add_u32_e32 v39, 32, v9
	v_cndmask_b32_e32 v9, v41, v40, vcc
	v_cmp_le_u32_e32 vcc, v39, v13
	v_mov_b32_e32 v40, 2
	s_waitcnt lgkmcnt(0)
	v_cndmask_b32_e32 v13, 1, v37, vcc
	v_mul_lo_u16_e32 v9, v9, v13
	s_or_b64 vcc, vcc, s[6:7]
	v_cndmask_b32_e32 v12, v12, v9, vcc
	v_mov_b32_e32 v9, 0
	s_branch .LBB12_68
.LBB12_67:                              ;   in Loop: Header=BB12_68 Depth=1
	s_or_b64 exec, exec, s[6:7]
	v_and_b32_e32 v42, 0xff, v41
	v_cmp_eq_u16_e32 vcc, 2, v26
	ds_bpermute_b32 v43, v27, v42
	v_subrev_u32_e32 v8, 64, v8
	v_and_b32_e32 v12, vcc_hi, v11
	v_or_b32_e32 v12, 0x80000000, v12
	v_and_b32_e32 v13, vcc_lo, v10
	v_ffbl_b32_e32 v12, v12
	v_add_u32_e32 v12, 32, v12
	v_ffbl_b32_e32 v13, v13
	v_min_u32_e32 v12, v13, v12
	s_waitcnt lgkmcnt(0)
	v_mul_lo_u16_e32 v13, v41, v43
	v_and_b32_e32 v43, 0xff, v13
	v_cmp_le_u32_e32 vcc, v28, v12
	v_cmp_le_u32_e64 s[6:7], v30, v12
	v_cmp_le_u32_e64 s[8:9], v32, v12
	v_cndmask_b32_e32 v42, v42, v43, vcc
	ds_bpermute_b32 v43, v29, v42
	v_cndmask_b32_e32 v13, v41, v13, vcc
	v_cmp_le_u32_e64 s[10:11], v34, v12
	s_waitcnt lgkmcnt(0)
	v_mul_lo_u16_e32 v43, v13, v43
	v_and_b32_e32 v44, 0xff, v43
	v_cndmask_b32_e64 v42, v42, v44, s[6:7]
	ds_bpermute_b32 v44, v31, v42
	v_cndmask_b32_e64 v13, v13, v43, s[6:7]
	s_or_b64 s[6:7], vcc, s[6:7]
	v_cmp_le_u32_e32 vcc, v36, v12
	s_or_b64 s[6:7], s[8:9], s[6:7]
	s_waitcnt lgkmcnt(0)
	v_mul_lo_u16_e32 v43, v13, v44
	v_and_b32_e32 v44, 0xff, v43
	v_cndmask_b32_e64 v42, v42, v44, s[8:9]
	ds_bpermute_b32 v44, v33, v42
	v_cndmask_b32_e64 v13, v13, v43, s[8:9]
	s_or_b64 s[6:7], s[10:11], s[6:7]
	s_or_b64 s[6:7], vcc, s[6:7]
	s_waitcnt lgkmcnt(0)
	v_mul_lo_u16_e32 v43, v13, v44
	v_and_b32_e32 v44, 0xff, v43
	v_cndmask_b32_e64 v42, v42, v44, s[10:11]
	ds_bpermute_b32 v44, v35, v42
	v_cndmask_b32_e64 v13, v13, v43, s[10:11]
	s_waitcnt lgkmcnt(0)
	v_mul_lo_u16_e32 v43, v13, v44
	v_and_b32_e32 v44, 0xff, v43
	v_cndmask_b32_e32 v42, v42, v44, vcc
	ds_bpermute_b32 v42, v38, v42
	v_cndmask_b32_e32 v13, v13, v43, vcc
	v_cmp_le_u32_e32 vcc, v39, v12
	s_waitcnt lgkmcnt(0)
	s_nop 0
	v_cndmask_b32_e32 v12, 1, v42, vcc
	v_mul_lo_u16_e32 v12, v13, v12
	s_or_b64 vcc, vcc, s[6:7]
	v_cndmask_b32_e32 v12, v41, v12, vcc
	v_mul_lo_u16_e32 v12, v12, v37
.LBB12_68:                              ; =>This Loop Header: Depth=1
                                        ;     Child Loop BB12_71 Depth 2
	v_cmp_ne_u16_sdwa s[6:7], v26, v40 src0_sel:BYTE_0 src1_sel:DWORD
	v_mov_b32_e32 v37, v12
	s_nop 0
	v_cndmask_b32_e64 v13, 0, 1, s[6:7]
	;;#ASMSTART
	;;#ASMEND
	s_nop 0
	v_cmp_ne_u32_e32 vcc, 0, v13
	s_cmp_lg_u64 vcc, exec
	s_cbranch_scc1 .LBB12_73
; %bb.69:                               ;   in Loop: Header=BB12_68 Depth=1
	v_lshl_add_u64 v[12:13], v[8:9], 1, s[12:13]
	global_load_ushort v41, v[12:13], off sc1
	s_waitcnt vmcnt(0)
	v_lshrrev_b16_e32 v26, 8, v41
	v_cmp_eq_u16_e32 vcc, 0, v26
	s_and_saveexec_b64 s[6:7], vcc
	s_cbranch_execz .LBB12_67
; %bb.70:                               ;   in Loop: Header=BB12_68 Depth=1
	s_mov_b64 s[8:9], 0
.LBB12_71:                              ;   Parent Loop BB12_68 Depth=1
                                        ; =>  This Inner Loop Header: Depth=2
	global_load_ushort v41, v[12:13], off sc1
	s_waitcnt vmcnt(0)
	v_lshrrev_b16_e32 v26, 8, v41
	v_cmp_ne_u16_e32 vcc, 0, v26
	s_or_b64 s[8:9], vcc, s[8:9]
	s_andn2_b64 exec, exec, s[8:9]
	s_cbranch_execnz .LBB12_71
; %bb.72:                               ;   in Loop: Header=BB12_68 Depth=1
	s_or_b64 exec, exec, s[8:9]
	s_branch .LBB12_67
.LBB12_73:                              ;   in Loop: Header=BB12_68 Depth=1
                                        ; implicit-def: $vgpr12
                                        ; implicit-def: $vgpr26
	s_cbranch_execz .LBB12_68
; %bb.74:
	s_and_saveexec_b64 s[6:7], s[4:5]
	s_cbranch_execz .LBB12_76
; %bb.75:
	s_add_i32 s2, s2, 64
	s_mov_b32 s3, 0
	s_lshl_b64 s[2:3], s[2:3], 1
	v_mul_lo_u16_e32 v8, v37, v25
	s_add_u32 s2, s12, s2
	s_movk_i32 s8, 0x200
	s_addc_u32 s3, s13, s3
	v_mov_b32_e32 v9, 0
	v_or_b32_sdwa v8, v8, s8 dst_sel:DWORD dst_unused:UNUSED_PAD src0_sel:BYTE_0 src1_sel:DWORD
	global_store_short v9, v8, s[2:3] sc1
.LBB12_76:
	s_or_b64 exec, exec, s[6:7]
	v_cmp_eq_u32_e32 vcc, 0, v0
	s_and_b64 exec, exec, vcc
	s_cbranch_execz .LBB12_78
; %bb.77:
	v_mov_b32_e32 v8, 0
	ds_write_b8 v8, v37 offset:3
.LBB12_78:
	s_or_b64 exec, exec, s[18:19]
	v_mov_b32_e32 v8, 0
	s_waitcnt lgkmcnt(0)
	s_barrier
	ds_read_u8 v8, v8 offset:3
	v_cndmask_b32_e64 v9, v24, v23, s[4:5]
	v_cmp_ne_u32_e32 vcc, 0, v0
	s_nop 1
	v_cndmask_b32_e32 v9, 1, v9, vcc
	v_mul_lo_u16_e32 v9, v9, v2
	s_waitcnt lgkmcnt(0)
	v_mul_lo_u16_e32 v8, v9, v8
	s_load_dwordx4 s[4:7], s[0:1], 0x30
	s_branch .LBB12_91
.LBB12_79:
                                        ; implicit-def: $vgpr8
	s_load_dwordx4 s[4:7], s[0:1], 0x30
	s_cbranch_execz .LBB12_91
; %bb.80:
	s_load_dword s2, s[0:1], 0x40
	v_cmp_eq_u32_e32 vcc, 0, v0
	v_mov_b32_e32 v8, v2
	s_waitcnt lgkmcnt(0)
	s_bitcmp1_b32 s2, 0
	s_cselect_b64 s[2:3], -1, 0
	s_and_b64 s[8:9], vcc, s[2:3]
	s_and_saveexec_b64 s[2:3], s[8:9]
	s_cbranch_execz .LBB12_82
; %bb.81:
	v_mov_b32_e32 v8, 0
	global_load_ubyte v8, v8, s[4:5]
	s_waitcnt vmcnt(0)
	v_mul_lo_u16_e32 v8, v8, v2
.LBB12_82:
	s_or_b64 exec, exec, s[2:3]
	v_mul_lo_u16_sdwa v9, v2, v19 dst_sel:DWORD dst_unused:UNUSED_PAD src0_sel:WORD_1 src1_sel:DWORD
	v_mul_lo_u16_sdwa v9, v9, v2 dst_sel:DWORD dst_unused:UNUSED_PAD src0_sel:DWORD src1_sel:BYTE_3
	v_mul_lo_u16_e32 v9, v9, v3
	v_mul_lo_u16_e32 v9, v9, v18
	v_mul_lo_u16_sdwa v9, v9, v3 dst_sel:DWORD dst_unused:UNUSED_PAD src0_sel:DWORD src1_sel:WORD_1
	v_mul_lo_u16_sdwa v9, v9, v3 dst_sel:DWORD dst_unused:UNUSED_PAD src0_sel:DWORD src1_sel:BYTE_3
	v_mul_lo_u16_e32 v9, v9, v4
	v_mul_lo_u16_e32 v9, v9, v17
	v_mul_lo_u16_sdwa v9, v9, v4 dst_sel:DWORD dst_unused:UNUSED_PAD src0_sel:DWORD src1_sel:WORD_1
	;; [unrolled: 4-line block ×5, first 2 shown]
	v_mul_lo_u16_sdwa v9, v9, v7 dst_sel:DWORD dst_unused:UNUSED_PAD src0_sel:DWORD src1_sel:BYTE_3
	v_mul_lo_u16_e32 v10, v9, v8
	v_and_b32_e32 v12, 0xff, v10
	v_mbcnt_hi_u32_b32 v9, -1, v22
	v_and_b32_e32 v11, 15, v9
	v_mov_b32_dpp v13, v12 row_shr:1 row_mask:0xf bank_mask:0xf
	v_mul_lo_u16_e32 v13, v10, v13
	v_and_b32_e32 v22, 0xff, v13
	v_cmp_eq_u32_e64 s[2:3], 0, v11
	s_nop 1
	v_cndmask_b32_e64 v12, v22, v12, s[2:3]
	v_cndmask_b32_e64 v10, v13, v10, s[2:3]
	v_cmp_lt_u32_e64 s[2:3], 1, v11
	v_mov_b32_dpp v13, v12 row_shr:2 row_mask:0xf bank_mask:0xf
	v_mul_lo_u16_e32 v13, v10, v13
	v_and_b32_e32 v22, 0xff, v13
	v_cndmask_b32_e64 v12, v12, v22, s[2:3]
	v_cndmask_b32_e64 v10, v10, v13, s[2:3]
	v_cmp_lt_u32_e64 s[2:3], 3, v11
	v_mov_b32_dpp v13, v12 row_shr:4 row_mask:0xf bank_mask:0xf
	v_mul_lo_u16_e32 v13, v10, v13
	v_and_b32_e32 v22, 0xff, v13
	;; [unrolled: 6-line block ×3, first 2 shown]
	v_cndmask_b32_e64 v11, v12, v22, s[2:3]
	v_cndmask_b32_e64 v10, v10, v13, s[2:3]
	v_and_b32_e32 v13, 16, v9
	v_mov_b32_dpp v12, v11 row_bcast:15 row_mask:0xf bank_mask:0xf
	v_mul_lo_u16_e32 v12, v10, v12
	v_and_b32_e32 v22, 0xff, v12
	v_cmp_eq_u32_e64 s[2:3], 0, v13
	s_nop 1
	v_cndmask_b32_e64 v11, v22, v11, s[2:3]
	v_cndmask_b32_e64 v10, v12, v10, s[2:3]
	v_cmp_lt_u32_e64 s[2:3], 31, v9
	v_mov_b32_dpp v11, v11 row_bcast:31 row_mask:0xf bank_mask:0xf
	s_nop 0
	v_cndmask_b32_e64 v11, 1, v11, s[2:3]
	v_mul_lo_u16_e32 v10, v10, v11
	v_cmp_eq_u32_e64 s[2:3], v21, v0
	s_and_saveexec_b64 s[4:5], s[2:3]
	s_cbranch_execz .LBB12_84
; %bb.83:
	ds_write_b8 v20, v10
.LBB12_84:
	s_or_b64 exec, exec, s[4:5]
	v_cmp_gt_u32_e64 s[2:3], 4, v0
	s_waitcnt lgkmcnt(0)
	s_barrier
	s_and_saveexec_b64 s[4:5], s[2:3]
	s_cbranch_execz .LBB12_86
; %bb.85:
	ds_read_u8 v11, v0
	v_and_b32_e32 v12, 3, v9
	v_cmp_eq_u32_e64 s[2:3], 0, v12
	s_waitcnt lgkmcnt(0)
	v_and_b32_e32 v13, 0xff, v11
	s_nop 1
	v_mov_b32_dpp v21, v13 row_shr:1 row_mask:0xf bank_mask:0xf
	v_mul_lo_u16_e32 v21, v11, v21
	v_and_b32_e32 v22, 0xff, v21
	v_cndmask_b32_e64 v13, v22, v13, s[2:3]
	v_cndmask_b32_e64 v11, v21, v11, s[2:3]
	v_cmp_lt_u32_e64 s[2:3], 1, v12
	v_mov_b32_dpp v13, v13 row_shr:2 row_mask:0xf bank_mask:0xf
	s_nop 0
	v_cndmask_b32_e64 v12, 1, v13, s[2:3]
	v_mul_lo_u16_e32 v11, v11, v12
	ds_write_b8 v0, v11
.LBB12_86:
	s_or_b64 exec, exec, s[4:5]
	v_cmp_lt_u32_e64 s[2:3], 63, v0
	s_waitcnt lgkmcnt(0)
	s_barrier
	s_waitcnt lgkmcnt(0)
                                        ; implicit-def: $vgpr11
	s_and_saveexec_b64 s[4:5], s[2:3]
	s_cbranch_execz .LBB12_88
; %bb.87:
	v_add_u32_e32 v11, -1, v20
	ds_read_u8 v11, v11
	s_waitcnt lgkmcnt(0)
	v_mul_lo_u16_e32 v10, v11, v10
.LBB12_88:
	s_or_b64 exec, exec, s[4:5]
	v_add_u32_e32 v12, -1, v9
	v_and_b32_e32 v13, 64, v9
	v_cmp_lt_i32_e64 s[2:3], v12, v13
	v_and_b32_e32 v10, 0xff, v10
	s_nop 0
	v_cndmask_b32_e64 v12, v12, v9, s[2:3]
	v_lshlrev_b32_e32 v12, 2, v12
	ds_bpermute_b32 v10, v12, v10
	v_cmp_eq_u32_e64 s[2:3], 0, v9
	s_waitcnt lgkmcnt(0)
	s_nop 0
	v_cndmask_b32_e64 v9, v10, v11, s[2:3]
	v_cndmask_b32_e64 v9, v9, 1, vcc
	s_and_saveexec_b64 s[2:3], vcc
	s_cbranch_execz .LBB12_90
; %bb.89:
	v_mov_b32_e32 v10, 0
	ds_read_u8 v11, v10 offset:3
	s_waitcnt lgkmcnt(0)
	v_or_b32_e32 v11, 0x200, v11
	global_store_short v10, v11, s[12:13] offset:128 sc1
.LBB12_90:
	s_or_b64 exec, exec, s[2:3]
	v_mul_lo_u16_e32 v8, v9, v8
.LBB12_91:
	v_mul_lo_u16_e32 v19, v8, v19
	v_mul_lo_u16_sdwa v9, v19, v2 dst_sel:DWORD dst_unused:UNUSED_PAD src0_sel:DWORD src1_sel:WORD_1
	v_mul_lo_u16_sdwa v20, v9, v2 dst_sel:DWORD dst_unused:UNUSED_PAD src0_sel:DWORD src1_sel:BYTE_3
	v_mul_lo_u16_e32 v10, v20, v3
	v_mul_lo_u16_e32 v18, v10, v18
	v_mul_lo_u16_sdwa v11, v18, v3 dst_sel:DWORD dst_unused:UNUSED_PAD src0_sel:DWORD src1_sel:WORD_1
	v_mul_lo_u16_sdwa v22, v11, v3 dst_sel:DWORD dst_unused:UNUSED_PAD src0_sel:DWORD src1_sel:BYTE_3
	v_mul_lo_u16_e32 v12, v22, v4
	;; [unrolled: 4-line block ×5, first 2 shown]
	v_mul_lo_u16_e32 v1, v4, v1
	v_mul_lo_u16_sdwa v5, v1, v7 dst_sel:DWORD dst_unused:UNUSED_PAD src0_sel:DWORD src1_sel:WORD_1
	v_mul_lo_u16_sdwa v6, v5, v7 dst_sel:DWORD dst_unused:UNUSED_PAD src0_sel:DWORD src1_sel:BYTE_3
	s_add_u32 s2, s14, s22
	s_addc_u32 s3, s15, 0
	s_waitcnt lgkmcnt(0)
	s_mov_b64 s[4:5], -1
	s_and_b64 vcc, exec, s[16:17]
	v_lshlrev_b16_e32 v25, 8, v23
	v_lshlrev_b16_e32 v26, 8, v26
	;; [unrolled: 1-line block ×12, first 2 shown]
	s_barrier
	s_cbranch_vccz .LBB12_93
; %bb.92:
	v_or_b32_sdwa v1, v17, v25 dst_sel:DWORD dst_unused:UNUSED_PAD src0_sel:BYTE_0 src1_sel:DWORD
	v_or_b32_sdwa v27, v16, v26 dst_sel:WORD_1 dst_unused:UNUSED_PAD src0_sel:BYTE_0 src1_sel:DWORD
	s_mov_b64 s[4:5], 0
	v_or_b32_sdwa v29, v1, v27 dst_sel:DWORD dst_unused:UNUSED_PAD src0_sel:WORD_0 src1_sel:DWORD
	v_or_b32_sdwa v1, v12, v23 dst_sel:DWORD dst_unused:UNUSED_PAD src0_sel:BYTE_0 src1_sel:DWORD
	v_or_b32_sdwa v27, v13, v24 dst_sel:WORD_1 dst_unused:UNUSED_PAD src0_sel:BYTE_0 src1_sel:DWORD
	s_nop 0
	v_or_b32_sdwa v28, v1, v27 dst_sel:DWORD dst_unused:UNUSED_PAD src0_sel:WORD_0 src1_sel:DWORD
	v_or_b32_sdwa v1, v10, v21 dst_sel:DWORD dst_unused:UNUSED_PAD src0_sel:BYTE_0 src1_sel:DWORD
	v_or_b32_sdwa v27, v11, v22 dst_sel:WORD_1 dst_unused:UNUSED_PAD src0_sel:BYTE_0 src1_sel:DWORD
	s_nop 0
	;; [unrolled: 4-line block ×3, first 2 shown]
	v_or_b32_sdwa v30, v1, v27 dst_sel:DWORD dst_unused:UNUSED_PAD src0_sel:WORD_0 src1_sel:DWORD
	v_or_b32_sdwa v1, v4, v15 dst_sel:DWORD dst_unused:UNUSED_PAD src0_sel:BYTE_0 src1_sel:DWORD
	v_or_b32_sdwa v27, v5, v18 dst_sel:WORD_1 dst_unused:UNUSED_PAD src0_sel:BYTE_0 src1_sel:DWORD
	ds_write2_b64 v14, v[30:31], v[28:29] offset1:1
	v_or_b32_sdwa v29, v1, v27 dst_sel:DWORD dst_unused:UNUSED_PAD src0_sel:WORD_0 src1_sel:DWORD
	v_or_b32_sdwa v1, v2, v6 dst_sel:DWORD dst_unused:UNUSED_PAD src0_sel:BYTE_0 src1_sel:DWORD
	v_or_b32_sdwa v27, v3, v7 dst_sel:WORD_1 dst_unused:UNUSED_PAD src0_sel:BYTE_0 src1_sel:DWORD
	s_nop 0
	v_or_b32_sdwa v28, v1, v27 dst_sel:DWORD dst_unused:UNUSED_PAD src0_sel:WORD_0 src1_sel:DWORD
	ds_write_b64 v14, v[28:29] offset:16
	s_waitcnt lgkmcnt(0)
	s_barrier
	ds_read_u8 v27, v0
	ds_read_u8 v30, v0 offset:256
	ds_read_u8 v31, v0 offset:512
	;; [unrolled: 1-line block ×23, first 2 shown]
	v_mov_b32_e32 v1, 0
	v_lshl_add_u64 v[28:29], s[2:3], 0, v[0:1]
	v_add_co_u32_e32 v28, vcc, 0x1000, v28
	s_waitcnt lgkmcnt(14)
	global_store_byte v0, v27, s[2:3]
	global_store_byte v0, v30, s[2:3] offset:256
	global_store_byte v0, v31, s[2:3] offset:512
	;; [unrolled: 1-line block ×9, first 2 shown]
	s_waitcnt lgkmcnt(13)
	global_store_byte v0, v39, s[2:3] offset:2560
	s_waitcnt lgkmcnt(12)
	global_store_byte v0, v40, s[2:3] offset:2816
	;; [unrolled: 2-line block ×6, first 2 shown]
	v_addc_co_u32_e32 v29, vcc, 0, v29, vcc
	s_waitcnt lgkmcnt(7)
	global_store_byte v[28:29], v45, off
	s_waitcnt lgkmcnt(6)
	global_store_byte v[28:29], v46, off offset:256
	s_waitcnt lgkmcnt(5)
	global_store_byte v[28:29], v47, off offset:512
	;; [unrolled: 2-line block ×7, first 2 shown]
.LBB12_93:
	s_andn2_b64 vcc, exec, s[4:5]
	s_cbranch_vccnz .LBB12_150
; %bb.94:
	v_or_b32_sdwa v1, v17, v25 dst_sel:DWORD dst_unused:UNUSED_PAD src0_sel:BYTE_0 src1_sel:DWORD
	v_or_b32_sdwa v16, v16, v26 dst_sel:WORD_1 dst_unused:UNUSED_PAD src0_sel:BYTE_0 src1_sel:DWORD
	v_cmp_gt_u32_e32 vcc, s20, v0
	v_or_b32_sdwa v17, v1, v16 dst_sel:DWORD dst_unused:UNUSED_PAD src0_sel:WORD_0 src1_sel:DWORD
	v_or_b32_sdwa v1, v12, v23 dst_sel:DWORD dst_unused:UNUSED_PAD src0_sel:BYTE_0 src1_sel:DWORD
	v_or_b32_sdwa v12, v13, v24 dst_sel:WORD_1 dst_unused:UNUSED_PAD src0_sel:BYTE_0 src1_sel:DWORD
	s_nop 0
	v_or_b32_sdwa v16, v1, v12 dst_sel:DWORD dst_unused:UNUSED_PAD src0_sel:WORD_0 src1_sel:DWORD
	v_or_b32_sdwa v1, v10, v21 dst_sel:DWORD dst_unused:UNUSED_PAD src0_sel:BYTE_0 src1_sel:DWORD
	v_or_b32_sdwa v10, v11, v22 dst_sel:WORD_1 dst_unused:UNUSED_PAD src0_sel:BYTE_0 src1_sel:DWORD
	s_nop 0
	;; [unrolled: 4-line block ×3, first 2 shown]
	v_or_b32_sdwa v10, v1, v8 dst_sel:DWORD dst_unused:UNUSED_PAD src0_sel:WORD_0 src1_sel:DWORD
	v_or_b32_sdwa v1, v4, v15 dst_sel:DWORD dst_unused:UNUSED_PAD src0_sel:BYTE_0 src1_sel:DWORD
	v_or_b32_sdwa v4, v5, v18 dst_sel:WORD_1 dst_unused:UNUSED_PAD src0_sel:BYTE_0 src1_sel:DWORD
	ds_write2_b64 v14, v[10:11], v[16:17] offset1:1
	v_or_b32_sdwa v5, v1, v4 dst_sel:DWORD dst_unused:UNUSED_PAD src0_sel:WORD_0 src1_sel:DWORD
	v_or_b32_sdwa v1, v2, v6 dst_sel:DWORD dst_unused:UNUSED_PAD src0_sel:BYTE_0 src1_sel:DWORD
	v_or_b32_sdwa v2, v3, v7 dst_sel:WORD_1 dst_unused:UNUSED_PAD src0_sel:BYTE_0 src1_sel:DWORD
	s_nop 0
	v_or_b32_sdwa v4, v1, v2 dst_sel:DWORD dst_unused:UNUSED_PAD src0_sel:WORD_0 src1_sel:DWORD
	ds_write_b64 v14, v[4:5] offset:16
	s_waitcnt lgkmcnt(0)
	s_barrier
	ds_read_u8 v5, v0
	ds_read_u8 v4, v0 offset:256
	ds_read_u8 v7, v0 offset:512
	;; [unrolled: 1-line block ×23, first 2 shown]
	v_mov_b32_e32 v1, 0
	v_lshl_add_u64 v[2:3], s[2:3], 0, v[0:1]
	s_and_saveexec_b64 s[2:3], vcc
	s_cbranch_execz .LBB12_96
; %bb.95:
	s_waitcnt lgkmcnt(14)
	global_store_byte v[2:3], v5, off
.LBB12_96:
	s_or_b64 exec, exec, s[2:3]
	v_or_b32_e32 v29, 0x100, v0
	v_cmp_gt_u32_e32 vcc, s20, v29
	s_and_saveexec_b64 s[2:3], vcc
	s_cbranch_execz .LBB12_98
; %bb.97:
	s_waitcnt lgkmcnt(14)
	global_store_byte v[2:3], v4, off offset:256
.LBB12_98:
	s_or_b64 exec, exec, s[2:3]
	v_or_b32_e32 v29, 0x200, v0
	v_cmp_gt_u32_e32 vcc, s20, v29
	s_and_saveexec_b64 s[2:3], vcc
	s_cbranch_execz .LBB12_100
; %bb.99:
	s_waitcnt lgkmcnt(14)
	global_store_byte v[2:3], v7, off offset:512
.LBB12_100:
	s_or_b64 exec, exec, s[2:3]
	v_or_b32_e32 v29, 0x300, v0
	v_cmp_gt_u32_e32 vcc, s20, v29
	s_and_saveexec_b64 s[2:3], vcc
	s_cbranch_execz .LBB12_102
; %bb.101:
	s_waitcnt lgkmcnt(14)
	global_store_byte v[2:3], v8, off offset:768
.LBB12_102:
	s_or_b64 exec, exec, s[2:3]
	v_or_b32_e32 v29, 0x400, v0
	v_cmp_gt_u32_e32 vcc, s20, v29
	s_and_saveexec_b64 s[2:3], vcc
	s_cbranch_execz .LBB12_104
; %bb.103:
	s_waitcnt lgkmcnt(14)
	global_store_byte v[2:3], v6, off offset:1024
.LBB12_104:
	s_or_b64 exec, exec, s[2:3]
	v_or_b32_e32 v29, 0x500, v0
	v_cmp_gt_u32_e32 vcc, s20, v29
	s_and_saveexec_b64 s[2:3], vcc
	s_cbranch_execz .LBB12_106
; %bb.105:
	s_waitcnt lgkmcnt(14)
	global_store_byte v[2:3], v9, off offset:1280
.LBB12_106:
	s_or_b64 exec, exec, s[2:3]
	v_or_b32_e32 v29, 0x600, v0
	v_cmp_gt_u32_e32 vcc, s20, v29
	s_and_saveexec_b64 s[2:3], vcc
	s_cbranch_execz .LBB12_108
; %bb.107:
	s_waitcnt lgkmcnt(14)
	global_store_byte v[2:3], v18, off offset:1536
.LBB12_108:
	s_or_b64 exec, exec, s[2:3]
	v_or_b32_e32 v29, 0x700, v0
	v_cmp_gt_u32_e32 vcc, s20, v29
	s_and_saveexec_b64 s[2:3], vcc
	s_cbranch_execz .LBB12_110
; %bb.109:
	s_waitcnt lgkmcnt(14)
	global_store_byte v[2:3], v16, off offset:1792
.LBB12_110:
	s_or_b64 exec, exec, s[2:3]
	v_or_b32_e32 v29, 0x800, v0
	v_cmp_gt_u32_e32 vcc, s20, v29
	s_and_saveexec_b64 s[2:3], vcc
	s_cbranch_execz .LBB12_112
; %bb.111:
	s_waitcnt lgkmcnt(14)
	global_store_byte v[2:3], v17, off offset:2048
.LBB12_112:
	s_or_b64 exec, exec, s[2:3]
	v_or_b32_e32 v29, 0x900, v0
	v_cmp_gt_u32_e32 vcc, s20, v29
	s_and_saveexec_b64 s[2:3], vcc
	s_cbranch_execz .LBB12_114
; %bb.113:
	s_waitcnt lgkmcnt(14)
	global_store_byte v[2:3], v24, off offset:2304
.LBB12_114:
	s_or_b64 exec, exec, s[2:3]
	v_or_b32_e32 v29, 0xa00, v0
	v_cmp_gt_u32_e32 vcc, s20, v29
	s_and_saveexec_b64 s[2:3], vcc
	s_cbranch_execz .LBB12_116
; %bb.115:
	s_waitcnt lgkmcnt(13)
	global_store_byte v[2:3], v21, off offset:2560
.LBB12_116:
	s_or_b64 exec, exec, s[2:3]
	v_or_b32_e32 v29, 0xb00, v0
	v_cmp_gt_u32_e32 vcc, s20, v29
	s_and_saveexec_b64 s[2:3], vcc
	s_cbranch_execz .LBB12_118
; %bb.117:
	s_waitcnt lgkmcnt(12)
	global_store_byte v[2:3], v20, off offset:2816
.LBB12_118:
	s_or_b64 exec, exec, s[2:3]
	v_or_b32_e32 v29, 0xc00, v0
	v_cmp_gt_u32_e32 vcc, s20, v29
	s_and_saveexec_b64 s[2:3], vcc
	s_cbranch_execz .LBB12_120
; %bb.119:
	s_waitcnt lgkmcnt(11)
	global_store_byte v[2:3], v19, off offset:3072
.LBB12_120:
	s_or_b64 exec, exec, s[2:3]
	v_or_b32_e32 v29, 0xd00, v0
	v_cmp_gt_u32_e32 vcc, s20, v29
	s_and_saveexec_b64 s[2:3], vcc
	s_cbranch_execz .LBB12_122
; %bb.121:
	s_waitcnt lgkmcnt(10)
	global_store_byte v[2:3], v13, off offset:3328
.LBB12_122:
	s_or_b64 exec, exec, s[2:3]
	v_or_b32_e32 v29, 0xe00, v0
	v_cmp_gt_u32_e32 vcc, s20, v29
	s_and_saveexec_b64 s[2:3], vcc
	s_cbranch_execz .LBB12_124
; %bb.123:
	s_waitcnt lgkmcnt(9)
	global_store_byte v[2:3], v15, off offset:3584
.LBB12_124:
	s_or_b64 exec, exec, s[2:3]
	v_or_b32_e32 v29, 0xf00, v0
	v_cmp_gt_u32_e32 vcc, s20, v29
	s_and_saveexec_b64 s[2:3], vcc
	s_cbranch_execz .LBB12_126
; %bb.125:
	s_waitcnt lgkmcnt(8)
	global_store_byte v[2:3], v10, off offset:3840
.LBB12_126:
	s_or_b64 exec, exec, s[2:3]
	v_or_b32_e32 v29, 0x1000, v0
	v_cmp_gt_u32_e32 vcc, s20, v29
	s_and_saveexec_b64 s[2:3], vcc
	s_cbranch_execz .LBB12_128
; %bb.127:
	v_add_co_u32_e32 v30, vcc, 0x1000, v2
	s_nop 1
	v_addc_co_u32_e32 v31, vcc, 0, v3, vcc
	s_waitcnt lgkmcnt(7)
	global_store_byte v[30:31], v23, off
.LBB12_128:
	s_or_b64 exec, exec, s[2:3]
	v_or_b32_e32 v29, 0x1100, v0
	v_cmp_gt_u32_e32 vcc, s20, v29
	s_and_saveexec_b64 s[2:3], vcc
	s_cbranch_execz .LBB12_130
; %bb.129:
	v_add_co_u32_e32 v30, vcc, 0x1000, v2
	s_nop 1
	v_addc_co_u32_e32 v31, vcc, 0, v3, vcc
	s_waitcnt lgkmcnt(6)
	global_store_byte v[30:31], v26, off offset:256
.LBB12_130:
	s_or_b64 exec, exec, s[2:3]
	v_or_b32_e32 v29, 0x1200, v0
	v_cmp_gt_u32_e32 vcc, s20, v29
	s_and_saveexec_b64 s[2:3], vcc
	s_cbranch_execz .LBB12_132
; %bb.131:
	v_add_co_u32_e32 v30, vcc, 0x1000, v2
	s_nop 1
	v_addc_co_u32_e32 v31, vcc, 0, v3, vcc
	s_waitcnt lgkmcnt(5)
	global_store_byte v[30:31], v25, off offset:512
.LBB12_132:
	;; [unrolled: 12-line block ×7, first 2 shown]
	s_or_b64 exec, exec, s[2:3]
	s_load_dword s0, s[0:1], 0x40
	s_waitcnt lgkmcnt(0)
	s_bfe_u32 s0, s0, 0x10008
	s_cmp_eq_u32 s0, 0
	s_cbranch_scc1 .LBB12_150
; %bb.143:
	s_add_u32 s0, s20, -1
	s_addc_u32 s1, s21, -1
	s_add_u32 s2, 0, 0xaaaa0000
	s_addc_u32 s3, 0, 42
	s_add_i32 s3, s3, 0xaaaaa80
	s_mul_hi_u32 s9, s2, 0xffffffe8
	s_sub_i32 s9, s9, s2
	s_mul_i32 s10, s3, 0xffffffe8
	s_mul_i32 s4, s2, 0xffffffe8
	s_add_i32 s9, s9, s10
	s_mul_hi_u32 s5, s3, s4
	s_mul_i32 s8, s3, s4
	s_mul_i32 s11, s2, s9
	s_mul_hi_u32 s4, s2, s4
	s_mul_hi_u32 s10, s2, s9
	s_add_u32 s4, s4, s11
	s_addc_u32 s10, 0, s10
	s_add_u32 s4, s4, s8
	s_mul_hi_u32 s11, s3, s9
	s_addc_u32 s4, s10, s5
	s_addc_u32 s5, s11, 0
	s_mul_i32 s8, s3, s9
	s_add_u32 s4, s4, s8
	v_mov_b32_e32 v2, s4
	s_addc_u32 s5, 0, s5
	v_add_co_u32_e32 v2, vcc, s2, v2
	s_cmp_lg_u64 vcc, 0
	s_addc_u32 s2, s3, s5
	v_readfirstlane_b32 s5, v2
	s_mul_i32 s4, s0, s2
	s_mul_hi_u32 s8, s0, s5
	s_mul_hi_u32 s3, s0, s2
	s_add_u32 s4, s8, s4
	s_addc_u32 s3, 0, s3
	s_mul_hi_u32 s9, s1, s5
	s_mul_i32 s5, s1, s5
	s_add_u32 s4, s4, s5
	s_mul_hi_u32 s8, s1, s2
	s_addc_u32 s3, s3, s9
	s_addc_u32 s4, s8, 0
	s_mul_i32 s2, s1, s2
	s_add_u32 s2, s3, s2
	s_addc_u32 s3, 0, s4
	s_add_u32 s4, s2, 1
	s_addc_u32 s5, s3, 0
	s_add_u32 s8, s2, 2
	s_mul_i32 s10, s3, 24
	s_mul_hi_u32 s11, s2, 24
	s_addc_u32 s9, s3, 0
	s_add_i32 s11, s11, s10
	s_mul_i32 s10, s2, 24
	v_mov_b32_e32 v2, s10
	v_sub_co_u32_e32 v2, vcc, s0, v2
	s_cmp_lg_u64 vcc, 0
	s_subb_u32 s10, s1, s11
	v_subrev_co_u32_e32 v3, vcc, 24, v2
	s_cmp_lg_u64 vcc, 0
	s_subb_u32 s11, s10, 0
	v_readfirstlane_b32 s12, v3
	s_cmp_gt_u32 s12, 23
	s_cselect_b32 s12, -1, 0
	s_cmp_eq_u32 s11, 0
	s_cselect_b32 s11, s12, -1
	s_cmp_lg_u32 s11, 0
	s_cselect_b32 s4, s8, s4
	v_readfirstlane_b32 s8, v2
	s_cselect_b32 s5, s9, s5
	s_cmp_gt_u32 s8, 23
	s_cselect_b32 s8, -1, 0
	s_cmp_eq_u32 s10, 0
	s_cselect_b32 s8, s8, -1
	s_cmp_lg_u32 s8, 0
	s_cselect_b32 s3, s5, s3
	s_cselect_b32 s2, s4, s2
	v_cmp_eq_u64_e32 vcc, s[2:3], v[0:1]
	s_and_saveexec_b64 s[2:3], vcc
	s_cbranch_execz .LBB12_150
; %bb.144:
	v_mul_hi_u32_u24_e32 v1, 24, v0
	v_mov_b32_e32 v2, s1
	v_sub_co_u32_e32 v0, vcc, s0, v14
	s_mov_b64 s[0:1], 0
	s_nop 0
	v_subb_co_u32_e32 v1, vcc, v2, v1, vcc
	v_cmp_lt_i64_e32 vcc, 11, v[0:1]
	s_mov_b64 s[10:11], 0
	s_mov_b64 s[8:9], 0
	;; [unrolled: 1-line block ×3, first 2 shown]
	s_and_saveexec_b64 s[2:3], vcc
	s_xor_b64 s[2:3], exec, s[2:3]
	s_cbranch_execnz .LBB12_151
; %bb.145:
	s_andn2_saveexec_b64 s[2:3], s[2:3]
	s_cbranch_execnz .LBB12_196
.LBB12_146:
	s_or_b64 exec, exec, s[2:3]
	s_and_saveexec_b64 s[2:3], s[10:11]
	s_cbranch_execnz .LBB12_213
.LBB12_147:
	s_or_b64 exec, exec, s[2:3]
	s_and_saveexec_b64 s[2:3], s[8:9]
	s_cbranch_execnz .LBB12_214
.LBB12_148:
	s_or_b64 exec, exec, s[2:3]
	s_and_saveexec_b64 s[2:3], s[4:5]
	s_xor_b64 s[2:3], exec, s[2:3]
	s_cbranch_execnz .LBB12_215
.LBB12_149:
	s_or_b64 exec, exec, s[2:3]
	s_and_b64 exec, exec, s[0:1]
	s_cbranch_execnz .LBB12_216
.LBB12_150:
	s_endpgm
.LBB12_151:
	v_cmp_lt_i64_e32 vcc, 17, v[0:1]
	s_and_saveexec_b64 s[12:13], vcc
	s_xor_b64 s[12:13], exec, s[12:13]
	s_cbranch_execz .LBB12_173
; %bb.152:
	v_cmp_lt_i64_e32 vcc, 20, v[0:1]
                                        ; implicit-def: $vgpr10
	s_and_saveexec_b64 s[14:15], vcc
	s_xor_b64 s[14:15], exec, s[14:15]
	s_cbranch_execz .LBB12_162
; %bb.153:
	v_cmp_lt_i64_e32 vcc, 21, v[0:1]
	s_mov_b64 s[16:17], 0
                                        ; implicit-def: $vgpr10
	s_and_saveexec_b64 s[4:5], vcc
	s_xor_b64 s[4:5], exec, s[4:5]
	s_cbranch_execz .LBB12_159
; %bb.154:
	v_cmp_lt_i64_e32 vcc, 22, v[0:1]
	s_and_saveexec_b64 s[16:17], vcc
	s_xor_b64 s[16:17], exec, s[16:17]
	s_cbranch_execz .LBB12_156
; %bb.155:
	v_mov_b32_e32 v2, 0
	global_store_byte v2, v28, s[6:7]
                                        ; implicit-def: $vgpr27
.LBB12_156:
	s_or_saveexec_b64 s[16:17], s[16:17]
	s_mov_b64 s[18:19], 0
	s_xor_b64 exec, exec, s[16:17]
; %bb.157:
	s_mov_b64 s[18:19], exec
; %bb.158:
	s_or_b64 exec, exec, s[16:17]
	s_and_b64 s[16:17], s[18:19], exec
	v_mov_b32_e32 v10, v27
                                        ; implicit-def: $vgpr11
.LBB12_159:
	s_andn2_saveexec_b64 s[4:5], s[4:5]
; %bb.160:
	s_mov_b64 s[8:9], exec
                                        ; implicit-def: $vgpr10
; %bb.161:
	s_or_b64 exec, exec, s[4:5]
	s_and_b64 s[4:5], s[16:17], exec
	s_and_b64 s[8:9], s[8:9], exec
                                        ; implicit-def: $vgpr25
                                        ; implicit-def: $vgpr12
                                        ; implicit-def: $vgpr22
.LBB12_162:
	s_andn2_saveexec_b64 s[14:15], s[14:15]
	s_cbranch_execz .LBB12_172
; %bb.163:
	v_cmp_lt_i64_e32 vcc, 18, v[0:1]
	s_mov_b64 s[16:17], 0
	s_and_saveexec_b64 s[10:11], vcc
	s_xor_b64 s[10:11], exec, s[10:11]
	s_cbranch_execz .LBB12_169
; %bb.164:
	v_cmp_lt_i64_e32 vcc, 19, v[0:1]
	s_and_saveexec_b64 s[18:19], vcc
	s_xor_b64 s[18:19], exec, s[18:19]
; %bb.165:
	s_mov_b64 s[16:17], exec
                                        ; implicit-def: $vgpr22
; %bb.166:
	s_andn2_saveexec_b64 s[18:19], s[18:19]
	s_cbranch_execz .LBB12_168
; %bb.167:
	v_mov_b32_e32 v2, 0
	global_store_byte v2, v22, s[6:7]
                                        ; implicit-def: $vgpr12
.LBB12_168:
	s_or_b64 exec, exec, s[18:19]
	s_and_b64 s[16:17], s[16:17], exec
                                        ; implicit-def: $vgpr25
.LBB12_169:
	s_andn2_saveexec_b64 s[10:11], s[10:11]
	s_cbranch_execz .LBB12_171
; %bb.170:
	v_mov_b32_e32 v2, 0
	global_store_byte v2, v25, s[6:7]
                                        ; implicit-def: $vgpr12
.LBB12_171:
	s_or_b64 exec, exec, s[10:11]
	s_and_b64 s[10:11], s[16:17], exec
                                        ; implicit-def: $vgpr10
                                        ; implicit-def: $vgpr11
.LBB12_172:
	s_or_b64 exec, exec, s[14:15]
	s_and_b64 s[4:5], s[4:5], exec
	s_and_b64 s[8:9], s[8:9], exec
	;; [unrolled: 1-line block ×3, first 2 shown]
                                        ; implicit-def: $vgpr19
                                        ; implicit-def: $vgpr13
                                        ; implicit-def: $vgpr15
                                        ; implicit-def: $vgpr23
                                        ; implicit-def: $vgpr26
.LBB12_173:
	s_andn2_saveexec_b64 s[12:13], s[12:13]
	s_cbranch_execz .LBB12_195
; %bb.174:
	v_cmp_lt_i64_e32 vcc, 14, v[0:1]
	s_mov_b64 s[14:15], s[4:5]
	s_and_saveexec_b64 s[16:17], vcc
	s_xor_b64 s[16:17], exec, s[16:17]
	s_cbranch_execz .LBB12_184
; %bb.175:
	v_cmp_lt_i64_e32 vcc, 15, v[0:1]
	s_and_saveexec_b64 s[14:15], vcc
	s_xor_b64 s[14:15], exec, s[14:15]
	s_cbranch_execz .LBB12_181
; %bb.176:
	v_cmp_lt_i64_e32 vcc, 16, v[0:1]
	s_and_saveexec_b64 s[18:19], vcc
	s_xor_b64 s[18:19], exec, s[18:19]
	s_cbranch_execz .LBB12_178
; %bb.177:
	v_mov_b32_e32 v2, 0
	global_store_byte v2, v26, s[6:7]
                                        ; implicit-def: $vgpr23
.LBB12_178:
	s_andn2_saveexec_b64 s[18:19], s[18:19]
	s_cbranch_execz .LBB12_180
; %bb.179:
	v_mov_b32_e32 v2, 0
	global_store_byte v2, v23, s[6:7]
.LBB12_180:
	s_or_b64 exec, exec, s[18:19]
                                        ; implicit-def: $vgpr10
.LBB12_181:
	s_or_saveexec_b64 s[14:15], s[14:15]
	s_mov_b64 s[18:19], s[4:5]
	s_xor_b64 exec, exec, s[14:15]
; %bb.182:
	s_or_b64 s[18:19], s[4:5], exec
; %bb.183:
	s_or_b64 exec, exec, s[14:15]
	s_andn2_b64 s[14:15], s[4:5], exec
	s_and_b64 s[18:19], s[18:19], exec
	s_or_b64 s[14:15], s[14:15], s[18:19]
                                        ; implicit-def: $vgpr19
                                        ; implicit-def: $vgpr13
                                        ; implicit-def: $vgpr15
.LBB12_184:
	s_or_saveexec_b64 s[16:17], s[16:17]
	s_mov_b64 s[18:19], s[8:9]
                                        ; implicit-def: $vgpr11
	s_xor_b64 exec, exec, s[16:17]
	s_cbranch_execz .LBB12_194
; %bb.185:
	v_cmp_lt_i64_e32 vcc, 12, v[0:1]
	s_mov_b64 s[20:21], s[8:9]
	s_mov_b64 s[22:23], s[14:15]
                                        ; implicit-def: $vgpr10
                                        ; implicit-def: $vgpr11
	s_and_saveexec_b64 s[18:19], vcc
	s_xor_b64 s[18:19], exec, s[18:19]
	s_cbranch_execz .LBB12_191
; %bb.186:
	v_cmp_lt_i64_e32 vcc, 13, v[0:1]
	s_mov_b64 s[20:21], s[14:15]
	s_and_saveexec_b64 s[22:23], vcc
	s_xor_b64 s[22:23], exec, s[22:23]
; %bb.187:
	s_or_b64 s[20:21], s[14:15], exec
                                        ; implicit-def: $vgpr13
; %bb.188:
	s_or_saveexec_b64 s[22:23], s[22:23]
	s_mov_b64 s[24:25], s[8:9]
	s_xor_b64 exec, exec, s[22:23]
; %bb.189:
	s_or_b64 s[24:25], s[8:9], exec
                                        ; implicit-def: $vgpr15
; %bb.190:
	s_or_b64 exec, exec, s[22:23]
	s_andn2_b64 s[22:23], s[14:15], exec
	s_and_b64 s[20:21], s[20:21], exec
	s_or_b64 s[22:23], s[22:23], s[20:21]
	s_andn2_b64 s[20:21], s[8:9], exec
	s_and_b64 s[24:25], s[24:25], exec
	s_or_b64 s[20:21], s[20:21], s[24:25]
	v_mov_b32_e32 v10, v15
	v_mov_b32_e32 v11, v13
                                        ; implicit-def: $vgpr19
.LBB12_191:
	s_andn2_saveexec_b64 s[18:19], s[18:19]
; %bb.192:
	s_or_b64 s[20:21], s[20:21], exec
                                        ; implicit-def: $vgpr10
	v_mov_b32_e32 v11, v19
; %bb.193:
	s_or_b64 exec, exec, s[18:19]
	s_andn2_b64 s[14:15], s[14:15], exec
	s_and_b64 s[18:19], s[22:23], exec
	s_or_b64 s[14:15], s[14:15], s[18:19]
	s_andn2_b64 s[18:19], s[8:9], exec
	s_and_b64 s[20:21], s[20:21], exec
	s_or_b64 s[18:19], s[18:19], s[20:21]
.LBB12_194:
	s_or_b64 exec, exec, s[16:17]
	s_andn2_b64 s[4:5], s[4:5], exec
	s_and_b64 s[14:15], s[14:15], exec
	s_or_b64 s[4:5], s[4:5], s[14:15]
	s_andn2_b64 s[8:9], s[8:9], exec
	s_and_b64 s[14:15], s[18:19], exec
	s_or_b64 s[8:9], s[8:9], s[14:15]
                                        ; implicit-def: $vgpr12
.LBB12_195:
	s_or_b64 exec, exec, s[12:13]
	s_and_b64 s[4:5], s[4:5], exec
	s_and_b64 s[8:9], s[8:9], exec
	;; [unrolled: 1-line block ×3, first 2 shown]
                                        ; implicit-def: $vgpr18
                                        ; implicit-def: $vgpr16
                                        ; implicit-def: $vgpr17
                                        ; implicit-def: $vgpr24
                                        ; implicit-def: $vgpr21
                                        ; implicit-def: $vgpr20
	s_andn2_saveexec_b64 s[2:3], s[2:3]
	s_cbranch_execz .LBB12_146
.LBB12_196:
	v_cmp_lt_i64_e32 vcc, 5, v[0:1]
	s_mov_b64 s[14:15], -1
	s_mov_b64 s[12:13], s[10:11]
	s_mov_b64 s[16:17], s[8:9]
	;; [unrolled: 1-line block ×3, first 2 shown]
                                        ; implicit-def: $vgpr10
                                        ; implicit-def: $vgpr11
                                        ; implicit-def: $vgpr12
	s_and_saveexec_b64 s[0:1], vcc
	s_cbranch_execz .LBB12_212
; %bb.197:
	v_cmp_lt_i64_e32 vcc, 8, v[0:1]
	s_mov_b64 s[12:13], s[10:11]
                                        ; implicit-def: $vgpr12
	s_and_saveexec_b64 s[14:15], vcc
	s_xor_b64 s[14:15], exec, s[14:15]
	s_cbranch_execz .LBB12_207
; %bb.198:
	v_cmp_lt_i64_e32 vcc, 9, v[0:1]
	s_and_saveexec_b64 s[12:13], vcc
	s_xor_b64 s[12:13], exec, s[12:13]
	s_cbranch_execz .LBB12_204
; %bb.199:
	v_cmp_lt_i64_e32 vcc, 10, v[0:1]
	s_and_saveexec_b64 s[16:17], vcc
	s_xor_b64 s[16:17], exec, s[16:17]
; %bb.200:
                                        ; implicit-def: $vgpr21
; %bb.201:
	s_andn2_saveexec_b64 s[16:17], s[16:17]
; %bb.202:
	v_mov_b32_e32 v20, v21
; %bb.203:
	s_or_b64 exec, exec, s[16:17]
                                        ; implicit-def: $vgpr24
.LBB12_204:
	s_andn2_saveexec_b64 s[12:13], s[12:13]
; %bb.205:
	v_mov_b32_e32 v20, v24
; %bb.206:
	s_or_b64 exec, exec, s[12:13]
	s_or_b64 s[12:13], s[10:11], exec
	v_mov_b32_e32 v12, v20
                                        ; implicit-def: $vgpr18
                                        ; implicit-def: $vgpr16
                                        ; implicit-def: $vgpr17
.LBB12_207:
	s_or_saveexec_b64 s[14:15], s[14:15]
	s_mov_b64 s[16:17], s[8:9]
	s_mov_b64 s[20:21], s[4:5]
                                        ; implicit-def: $vgpr10
                                        ; implicit-def: $vgpr11
	s_xor_b64 exec, exec, s[14:15]
	s_cbranch_execz .LBB12_211
; %bb.208:
	v_cmp_lt_i64_e32 vcc, 6, v[0:1]
	s_mov_b64 s[20:21], -1
	s_mov_b64 s[18:19], s[12:13]
	s_mov_b64 s[16:17], s[8:9]
	s_and_saveexec_b64 s[22:23], vcc
; %bb.209:
	v_cmp_lt_i64_e32 vcc, 7, v[0:1]
	s_andn2_b64 s[18:19], s[12:13], exec
	s_and_b64 s[24:25], vcc, exec
	s_xor_b64 s[20:21], exec, -1
	s_or_b64 s[16:17], s[8:9], exec
	s_or_b64 s[18:19], s[18:19], s[24:25]
                                        ; implicit-def: $vgpr18
; %bb.210:
	s_or_b64 exec, exec, s[22:23]
	s_andn2_b64 s[22:23], s[4:5], exec
	s_and_b64 s[20:21], s[20:21], exec
	s_or_b64 s[20:21], s[22:23], s[20:21]
	s_andn2_b64 s[22:23], s[8:9], exec
	s_and_b64 s[16:17], s[16:17], exec
	s_andn2_b64 s[12:13], s[12:13], exec
	s_and_b64 s[18:19], s[18:19], exec
	s_or_b64 s[16:17], s[22:23], s[16:17]
	s_or_b64 s[12:13], s[12:13], s[18:19]
	v_mov_b32_e32 v10, v18
	v_mov_b32_e32 v11, v16
	;; [unrolled: 1-line block ×3, first 2 shown]
.LBB12_211:
	s_or_b64 exec, exec, s[14:15]
	s_andn2_b64 s[18:19], s[4:5], exec
	s_and_b64 s[20:21], s[20:21], exec
	s_or_b64 s[18:19], s[18:19], s[20:21]
	s_andn2_b64 s[20:21], s[8:9], exec
	s_and_b64 s[16:17], s[16:17], exec
	s_or_b64 s[16:17], s[20:21], s[16:17]
	s_andn2_b64 s[20:21], s[10:11], exec
	s_and_b64 s[12:13], s[12:13], exec
	s_xor_b64 s[14:15], exec, -1
	s_or_b64 s[12:13], s[20:21], s[12:13]
.LBB12_212:
	s_or_b64 exec, exec, s[0:1]
	s_and_b64 s[0:1], s[14:15], exec
	s_andn2_b64 s[4:5], s[4:5], exec
	s_and_b64 s[14:15], s[18:19], exec
	s_or_b64 s[4:5], s[4:5], s[14:15]
	s_andn2_b64 s[8:9], s[8:9], exec
	s_and_b64 s[14:15], s[16:17], exec
	s_andn2_b64 s[10:11], s[10:11], exec
	s_and_b64 s[12:13], s[12:13], exec
	s_or_b64 s[8:9], s[8:9], s[14:15]
	s_or_b64 s[10:11], s[10:11], s[12:13]
	s_or_b64 exec, exec, s[2:3]
	s_and_saveexec_b64 s[2:3], s[10:11]
	s_cbranch_execz .LBB12_147
.LBB12_213:
	v_mov_b32_e32 v2, 0
	s_andn2_b64 s[8:9], s[8:9], exec
	global_store_byte v2, v12, s[6:7]
                                        ; implicit-def: $vgpr10
                                        ; implicit-def: $vgpr11
	s_or_b64 exec, exec, s[2:3]
	s_and_saveexec_b64 s[2:3], s[8:9]
	s_cbranch_execz .LBB12_148
.LBB12_214:
	v_mov_b32_e32 v2, 0
	global_store_byte v2, v11, s[6:7]
                                        ; implicit-def: $vgpr10
	s_or_b64 exec, exec, s[2:3]
	s_and_saveexec_b64 s[2:3], s[4:5]
	s_xor_b64 s[2:3], exec, s[2:3]
	s_cbranch_execz .LBB12_149
.LBB12_215:
	v_mov_b32_e32 v2, 0
	global_store_byte v2, v10, s[6:7]
	s_or_b64 exec, exec, s[2:3]
	s_and_b64 exec, exec, s[0:1]
	s_cbranch_execz .LBB12_150
.LBB12_216:
	v_cmp_lt_i64_e32 vcc, 2, v[0:1]
	s_and_saveexec_b64 s[0:1], vcc
	s_xor_b64 s[0:1], exec, s[0:1]
	s_cbranch_execz .LBB12_226
; %bb.217:
	v_cmp_lt_i64_e32 vcc, 3, v[0:1]
	s_and_saveexec_b64 s[2:3], vcc
	s_xor_b64 s[2:3], exec, s[2:3]
	s_cbranch_execz .LBB12_223
; %bb.218:
	v_cmp_lt_i64_e32 vcc, 4, v[0:1]
	s_and_saveexec_b64 s[4:5], vcc
	s_xor_b64 s[4:5], exec, s[4:5]
	s_cbranch_execz .LBB12_220
; %bb.219:
	v_mov_b32_e32 v0, 0
	global_store_byte v0, v9, s[6:7]
                                        ; implicit-def: $vgpr6
.LBB12_220:
	s_andn2_saveexec_b64 s[4:5], s[4:5]
	s_cbranch_execz .LBB12_222
; %bb.221:
	v_mov_b32_e32 v0, 0
	global_store_byte v0, v6, s[6:7]
.LBB12_222:
	s_or_b64 exec, exec, s[4:5]
                                        ; implicit-def: $vgpr8
.LBB12_223:
	s_andn2_saveexec_b64 s[2:3], s[2:3]
	s_cbranch_execz .LBB12_225
; %bb.224:
	v_mov_b32_e32 v0, 0
	global_store_byte v0, v8, s[6:7]
.LBB12_225:
	s_or_b64 exec, exec, s[2:3]
                                        ; implicit-def: $vgpr0_vgpr1
                                        ; implicit-def: $vgpr7
                                        ; implicit-def: $vgpr4
                                        ; implicit-def: $vgpr5
.LBB12_226:
	s_andn2_saveexec_b64 s[0:1], s[0:1]
	s_cbranch_execz .LBB12_150
; %bb.227:
	v_cmp_lt_i64_e32 vcc, 1, v[0:1]
	s_and_saveexec_b64 s[0:1], vcc
	s_xor_b64 s[0:1], exec, s[0:1]
	s_cbranch_execz .LBB12_229
; %bb.228:
	v_mov_b32_e32 v0, 0
	global_store_byte v0, v7, s[6:7]
                                        ; implicit-def: $vgpr4
                                        ; implicit-def: $vgpr0_vgpr1
                                        ; implicit-def: $vgpr5
.LBB12_229:
	s_andn2_saveexec_b64 s[0:1], s[0:1]
	s_cbranch_execz .LBB12_150
; %bb.230:
	v_cmp_ne_u64_e32 vcc, 1, v[0:1]
	s_and_saveexec_b64 s[0:1], vcc
	s_xor_b64 s[0:1], exec, s[0:1]
	s_cbranch_execz .LBB12_232
; %bb.231:
	v_mov_b32_e32 v0, 0
	global_store_byte v0, v5, s[6:7]
                                        ; implicit-def: $vgpr4
.LBB12_232:
	s_andn2_saveexec_b64 s[0:1], s[0:1]
	s_cbranch_execz .LBB12_150
; %bb.233:
	v_mov_b32_e32 v0, 0
	global_store_byte v0, v4, s[6:7]
	s_endpgm
	.section	.rodata,"a",@progbits
	.p2align	6, 0x0
	.amdhsa_kernel _ZN7rocprim17ROCPRIM_304000_NS6detail20lookback_scan_kernelILNS1_25lookback_scan_determinismE0ELb0ENS1_19wrapped_scan_configINS0_14default_configEaEEPKaPaSt10multipliesIaEaaNS1_19lookback_scan_stateIaLb0ELb1EEEEEvT2_T3_mT5_T4_T7_jPT6_SK_bb
		.amdhsa_group_segment_fixed_size 6144
		.amdhsa_private_segment_fixed_size 0
		.amdhsa_kernarg_size 68
		.amdhsa_user_sgpr_count 2
		.amdhsa_user_sgpr_dispatch_ptr 0
		.amdhsa_user_sgpr_queue_ptr 0
		.amdhsa_user_sgpr_kernarg_segment_ptr 1
		.amdhsa_user_sgpr_dispatch_id 0
		.amdhsa_user_sgpr_kernarg_preload_length 0
		.amdhsa_user_sgpr_kernarg_preload_offset 0
		.amdhsa_user_sgpr_private_segment_size 0
		.amdhsa_uses_dynamic_stack 0
		.amdhsa_enable_private_segment 0
		.amdhsa_system_sgpr_workgroup_id_x 1
		.amdhsa_system_sgpr_workgroup_id_y 0
		.amdhsa_system_sgpr_workgroup_id_z 0
		.amdhsa_system_sgpr_workgroup_info 0
		.amdhsa_system_vgpr_workitem_id 0
		.amdhsa_next_free_vgpr 53
		.amdhsa_next_free_sgpr 26
		.amdhsa_accum_offset 56
		.amdhsa_reserve_vcc 1
		.amdhsa_float_round_mode_32 0
		.amdhsa_float_round_mode_16_64 0
		.amdhsa_float_denorm_mode_32 3
		.amdhsa_float_denorm_mode_16_64 3
		.amdhsa_dx10_clamp 1
		.amdhsa_ieee_mode 1
		.amdhsa_fp16_overflow 0
		.amdhsa_tg_split 0
		.amdhsa_exception_fp_ieee_invalid_op 0
		.amdhsa_exception_fp_denorm_src 0
		.amdhsa_exception_fp_ieee_div_zero 0
		.amdhsa_exception_fp_ieee_overflow 0
		.amdhsa_exception_fp_ieee_underflow 0
		.amdhsa_exception_fp_ieee_inexact 0
		.amdhsa_exception_int_div_zero 0
	.end_amdhsa_kernel
	.section	.text._ZN7rocprim17ROCPRIM_304000_NS6detail20lookback_scan_kernelILNS1_25lookback_scan_determinismE0ELb0ENS1_19wrapped_scan_configINS0_14default_configEaEEPKaPaSt10multipliesIaEaaNS1_19lookback_scan_stateIaLb0ELb1EEEEEvT2_T3_mT5_T4_T7_jPT6_SK_bb,"axG",@progbits,_ZN7rocprim17ROCPRIM_304000_NS6detail20lookback_scan_kernelILNS1_25lookback_scan_determinismE0ELb0ENS1_19wrapped_scan_configINS0_14default_configEaEEPKaPaSt10multipliesIaEaaNS1_19lookback_scan_stateIaLb0ELb1EEEEEvT2_T3_mT5_T4_T7_jPT6_SK_bb,comdat
.Lfunc_end12:
	.size	_ZN7rocprim17ROCPRIM_304000_NS6detail20lookback_scan_kernelILNS1_25lookback_scan_determinismE0ELb0ENS1_19wrapped_scan_configINS0_14default_configEaEEPKaPaSt10multipliesIaEaaNS1_19lookback_scan_stateIaLb0ELb1EEEEEvT2_T3_mT5_T4_T7_jPT6_SK_bb, .Lfunc_end12-_ZN7rocprim17ROCPRIM_304000_NS6detail20lookback_scan_kernelILNS1_25lookback_scan_determinismE0ELb0ENS1_19wrapped_scan_configINS0_14default_configEaEEPKaPaSt10multipliesIaEaaNS1_19lookback_scan_stateIaLb0ELb1EEEEEvT2_T3_mT5_T4_T7_jPT6_SK_bb
                                        ; -- End function
	.section	.AMDGPU.csdata,"",@progbits
; Kernel info:
; codeLenInByte = 8540
; NumSgprs: 32
; NumVgprs: 53
; NumAgprs: 0
; TotalNumVgprs: 53
; ScratchSize: 0
; MemoryBound: 0
; FloatMode: 240
; IeeeMode: 1
; LDSByteSize: 6144 bytes/workgroup (compile time only)
; SGPRBlocks: 3
; VGPRBlocks: 6
; NumSGPRsForWavesPerEU: 32
; NumVGPRsForWavesPerEU: 53
; AccumOffset: 56
; Occupancy: 8
; WaveLimiterHint : 1
; COMPUTE_PGM_RSRC2:SCRATCH_EN: 0
; COMPUTE_PGM_RSRC2:USER_SGPR: 2
; COMPUTE_PGM_RSRC2:TRAP_HANDLER: 0
; COMPUTE_PGM_RSRC2:TGID_X_EN: 1
; COMPUTE_PGM_RSRC2:TGID_Y_EN: 0
; COMPUTE_PGM_RSRC2:TGID_Z_EN: 0
; COMPUTE_PGM_RSRC2:TIDIG_COMP_CNT: 0
; COMPUTE_PGM_RSRC3_GFX90A:ACCUM_OFFSET: 13
; COMPUTE_PGM_RSRC3_GFX90A:TG_SPLIT: 0
	.section	.text._ZN7rocprim17ROCPRIM_304000_NS6detail16transform_kernelINS1_24wrapped_transform_configINS0_14default_configEaEEaPaS6_NS0_8identityIaEEEEvT1_mT2_T3_,"axG",@progbits,_ZN7rocprim17ROCPRIM_304000_NS6detail16transform_kernelINS1_24wrapped_transform_configINS0_14default_configEaEEaPaS6_NS0_8identityIaEEEEvT1_mT2_T3_,comdat
	.protected	_ZN7rocprim17ROCPRIM_304000_NS6detail16transform_kernelINS1_24wrapped_transform_configINS0_14default_configEaEEaPaS6_NS0_8identityIaEEEEvT1_mT2_T3_ ; -- Begin function _ZN7rocprim17ROCPRIM_304000_NS6detail16transform_kernelINS1_24wrapped_transform_configINS0_14default_configEaEEaPaS6_NS0_8identityIaEEEEvT1_mT2_T3_
	.globl	_ZN7rocprim17ROCPRIM_304000_NS6detail16transform_kernelINS1_24wrapped_transform_configINS0_14default_configEaEEaPaS6_NS0_8identityIaEEEEvT1_mT2_T3_
	.p2align	8
	.type	_ZN7rocprim17ROCPRIM_304000_NS6detail16transform_kernelINS1_24wrapped_transform_configINS0_14default_configEaEEaPaS6_NS0_8identityIaEEEEvT1_mT2_T3_,@function
_ZN7rocprim17ROCPRIM_304000_NS6detail16transform_kernelINS1_24wrapped_transform_configINS0_14default_configEaEEaPaS6_NS0_8identityIaEEEEvT1_mT2_T3_: ; @_ZN7rocprim17ROCPRIM_304000_NS6detail16transform_kernelINS1_24wrapped_transform_configINS0_14default_configEaEEaPaS6_NS0_8identityIaEEEEvT1_mT2_T3_
; %bb.0:
	s_load_dword s3, s[0:1], 0x20
	s_load_dwordx4 s[4:7], s[0:1], 0x0
	s_load_dwordx2 s[30:31], s[0:1], 0x10
	s_lshl_b32 s33, s2, 12
	v_mov_b32_e32 v1, 0
	s_waitcnt lgkmcnt(0)
	s_add_i32 s3, s3, -1
	s_add_u32 s0, s4, s33
	s_addc_u32 s1, s5, 0
	s_cmp_lg_u32 s2, s3
	v_lshl_add_u64 v[2:3], s[0:1], 0, v[0:1]
	s_cbranch_scc0 .LBB13_2
; %bb.1:
	global_load_ubyte v4, v[2:3], off
	global_load_ubyte v8, v[2:3], off offset:256
	global_load_ubyte v9, v[2:3], off offset:512
	global_load_ubyte v10, v[2:3], off offset:768
	global_load_ubyte v11, v[2:3], off offset:1024
	global_load_ubyte v12, v[2:3], off offset:1280
	global_load_ubyte v13, v[2:3], off offset:1536
	global_load_ubyte v14, v[2:3], off offset:1792
	global_load_ubyte v15, v[2:3], off offset:2048
	global_load_ubyte v16, v[2:3], off offset:2304
	global_load_ubyte v17, v[2:3], off offset:2560
	global_load_ubyte v18, v[2:3], off offset:2816
	global_load_ubyte v19, v[2:3], off offset:3072
	global_load_ubyte v20, v[2:3], off offset:3328
	global_load_ubyte v21, v[2:3], off offset:3584
	global_load_ubyte v5, v[2:3], off offset:3840
	s_add_u32 s2, s30, s33
	s_addc_u32 s3, s31, 0
	v_lshl_add_u64 v[6:7], s[2:3], 0, v[0:1]
	s_mov_b64 s[34:35], -1
	s_waitcnt vmcnt(15)
	global_store_byte v[6:7], v4, off
	s_waitcnt vmcnt(15)
	global_store_byte v[6:7], v8, off offset:256
	s_waitcnt vmcnt(15)
	global_store_byte v[6:7], v9, off offset:512
	;; [unrolled: 2-line block ×14, first 2 shown]
	s_cbranch_execz .LBB13_3
	s_branch .LBB13_68
.LBB13_2:
	s_mov_b64 s[34:35], 0
                                        ; implicit-def: $vgpr5
.LBB13_3:
	s_sub_i32 s36, s6, s33
	v_cmp_gt_u32_e32 vcc, s36, v0
                                        ; implicit-def: $vgpr4
	s_and_saveexec_b64 s[0:1], vcc
	s_cbranch_execz .LBB13_5
; %bb.4:
	global_load_ubyte v4, v[2:3], off
.LBB13_5:
	s_or_b64 exec, exec, s[0:1]
	s_waitcnt vmcnt(15)
	v_or_b32_e32 v5, 0x100, v0
	v_cmp_gt_u32_e64 s[0:1], s36, v5
                                        ; implicit-def: $vgpr5
	s_and_saveexec_b64 s[2:3], s[0:1]
	s_cbranch_execz .LBB13_7
; %bb.6:
	global_load_ubyte v5, v[2:3], off offset:256
.LBB13_7:
	s_or_b64 exec, exec, s[2:3]
	v_or_b32_e32 v6, 0x200, v0
	v_cmp_gt_u32_e64 s[2:3], s36, v6
                                        ; implicit-def: $vgpr6
	s_and_saveexec_b64 s[4:5], s[2:3]
	s_cbranch_execz .LBB13_9
; %bb.8:
	global_load_ubyte v6, v[2:3], off offset:512
.LBB13_9:
	s_or_b64 exec, exec, s[4:5]
	v_or_b32_e32 v7, 0x300, v0
	v_cmp_gt_u32_e64 s[4:5], s36, v7
                                        ; implicit-def: $vgpr7
	s_and_saveexec_b64 s[6:7], s[4:5]
	s_cbranch_execz .LBB13_11
; %bb.10:
	global_load_ubyte v7, v[2:3], off offset:768
.LBB13_11:
	s_or_b64 exec, exec, s[6:7]
	v_or_b32_e32 v8, 0x400, v0
	v_cmp_gt_u32_e64 s[6:7], s36, v8
                                        ; implicit-def: $vgpr8
	s_and_saveexec_b64 s[8:9], s[6:7]
	s_cbranch_execz .LBB13_13
; %bb.12:
	global_load_ubyte v8, v[2:3], off offset:1024
.LBB13_13:
	s_or_b64 exec, exec, s[8:9]
	v_or_b32_e32 v9, 0x500, v0
	v_cmp_gt_u32_e64 s[8:9], s36, v9
                                        ; implicit-def: $vgpr9
	s_and_saveexec_b64 s[10:11], s[8:9]
	s_cbranch_execz .LBB13_15
; %bb.14:
	global_load_ubyte v9, v[2:3], off offset:1280
.LBB13_15:
	s_or_b64 exec, exec, s[10:11]
	v_or_b32_e32 v10, 0x600, v0
	v_cmp_gt_u32_e64 s[10:11], s36, v10
                                        ; implicit-def: $vgpr10
	s_and_saveexec_b64 s[12:13], s[10:11]
	s_cbranch_execz .LBB13_17
; %bb.16:
	global_load_ubyte v10, v[2:3], off offset:1536
.LBB13_17:
	s_or_b64 exec, exec, s[12:13]
	v_or_b32_e32 v11, 0x700, v0
	v_cmp_gt_u32_e64 s[12:13], s36, v11
                                        ; implicit-def: $vgpr11
	s_and_saveexec_b64 s[14:15], s[12:13]
	s_cbranch_execz .LBB13_19
; %bb.18:
	global_load_ubyte v11, v[2:3], off offset:1792
.LBB13_19:
	s_or_b64 exec, exec, s[14:15]
	v_or_b32_e32 v12, 0x800, v0
	v_cmp_gt_u32_e64 s[14:15], s36, v12
                                        ; implicit-def: $vgpr12
	s_and_saveexec_b64 s[16:17], s[14:15]
	s_cbranch_execz .LBB13_21
; %bb.20:
	global_load_ubyte v12, v[2:3], off offset:2048
.LBB13_21:
	s_or_b64 exec, exec, s[16:17]
	v_or_b32_e32 v13, 0x900, v0
	v_cmp_gt_u32_e64 s[16:17], s36, v13
                                        ; implicit-def: $vgpr13
	s_and_saveexec_b64 s[18:19], s[16:17]
	s_cbranch_execz .LBB13_23
; %bb.22:
	global_load_ubyte v13, v[2:3], off offset:2304
.LBB13_23:
	s_or_b64 exec, exec, s[18:19]
	v_or_b32_e32 v14, 0xa00, v0
	v_cmp_gt_u32_e64 s[18:19], s36, v14
                                        ; implicit-def: $vgpr14
	s_and_saveexec_b64 s[20:21], s[18:19]
	s_cbranch_execz .LBB13_25
; %bb.24:
	global_load_ubyte v14, v[2:3], off offset:2560
.LBB13_25:
	s_or_b64 exec, exec, s[20:21]
	v_or_b32_e32 v15, 0xb00, v0
	v_cmp_gt_u32_e64 s[20:21], s36, v15
                                        ; implicit-def: $vgpr15
	s_and_saveexec_b64 s[22:23], s[20:21]
	s_cbranch_execz .LBB13_27
; %bb.26:
	global_load_ubyte v15, v[2:3], off offset:2816
.LBB13_27:
	s_or_b64 exec, exec, s[22:23]
	v_or_b32_e32 v16, 0xc00, v0
	v_cmp_gt_u32_e64 s[22:23], s36, v16
                                        ; implicit-def: $vgpr16
	s_and_saveexec_b64 s[24:25], s[22:23]
	s_cbranch_execz .LBB13_29
; %bb.28:
	global_load_ubyte v16, v[2:3], off offset:3072
.LBB13_29:
	s_or_b64 exec, exec, s[24:25]
	v_or_b32_e32 v17, 0xd00, v0
	v_cmp_gt_u32_e64 s[24:25], s36, v17
                                        ; implicit-def: $vgpr17
	s_and_saveexec_b64 s[26:27], s[24:25]
	s_cbranch_execz .LBB13_31
; %bb.30:
	global_load_ubyte v17, v[2:3], off offset:3328
.LBB13_31:
	s_or_b64 exec, exec, s[26:27]
	v_or_b32_e32 v18, 0xe00, v0
	v_cmp_gt_u32_e64 s[26:27], s36, v18
                                        ; implicit-def: $vgpr18
	s_and_saveexec_b64 s[28:29], s[26:27]
	s_cbranch_execz .LBB13_33
; %bb.32:
	global_load_ubyte v18, v[2:3], off offset:3584
.LBB13_33:
	s_or_b64 exec, exec, s[28:29]
	v_or_b32_e32 v19, 0xf00, v0
	v_cmp_gt_u32_e64 s[28:29], s36, v19
                                        ; implicit-def: $vgpr19
	s_and_saveexec_b64 s[36:37], s[28:29]
	s_cbranch_execz .LBB13_35
; %bb.34:
	global_load_ubyte v19, v[2:3], off offset:3840
.LBB13_35:
	s_or_b64 exec, exec, s[36:37]
	s_waitcnt vmcnt(0)
	v_lshlrev_b16_e32 v2, 8, v5
	v_lshlrev_b16_e32 v3, 8, v7
	v_or_b32_sdwa v2, v4, v2 dst_sel:DWORD dst_unused:UNUSED_PAD src0_sel:BYTE_0 src1_sel:DWORD
	v_or_b32_sdwa v3, v6, v3 dst_sel:WORD_1 dst_unused:UNUSED_PAD src0_sel:BYTE_0 src1_sel:DWORD
	s_add_u32 s36, s30, s33
	v_or_b32_sdwa v7, v2, v3 dst_sel:DWORD dst_unused:UNUSED_PAD src0_sel:WORD_0 src1_sel:DWORD
	v_lshlrev_b16_e32 v2, 8, v9
	v_lshlrev_b16_e32 v3, 8, v11
	v_or_b32_sdwa v2, v8, v2 dst_sel:DWORD dst_unused:UNUSED_PAD src0_sel:BYTE_0 src1_sel:DWORD
	v_or_b32_sdwa v3, v10, v3 dst_sel:WORD_1 dst_unused:UNUSED_PAD src0_sel:BYTE_0 src1_sel:DWORD
	s_addc_u32 s37, s31, 0
	v_or_b32_sdwa v6, v2, v3 dst_sel:DWORD dst_unused:UNUSED_PAD src0_sel:WORD_0 src1_sel:DWORD
	v_lshlrev_b16_e32 v2, 8, v13
	v_lshlrev_b16_e32 v3, 8, v15
	v_or_b32_sdwa v2, v12, v2 dst_sel:DWORD dst_unused:UNUSED_PAD src0_sel:BYTE_0 src1_sel:DWORD
	v_or_b32_sdwa v3, v14, v3 dst_sel:WORD_1 dst_unused:UNUSED_PAD src0_sel:BYTE_0 src1_sel:DWORD
	s_nop 0
	v_or_b32_sdwa v5, v2, v3 dst_sel:DWORD dst_unused:UNUSED_PAD src0_sel:WORD_0 src1_sel:DWORD
	v_lshlrev_b16_e32 v2, 8, v17
	v_lshlrev_b16_e32 v3, 8, v19
	v_or_b32_sdwa v2, v16, v2 dst_sel:DWORD dst_unused:UNUSED_PAD src0_sel:BYTE_0 src1_sel:DWORD
	v_or_b32_sdwa v3, v18, v3 dst_sel:WORD_1 dst_unused:UNUSED_PAD src0_sel:BYTE_0 src1_sel:DWORD
	s_nop 0
	v_or_b32_sdwa v4, v2, v3 dst_sel:DWORD dst_unused:UNUSED_PAD src0_sel:WORD_0 src1_sel:DWORD
	v_lshl_add_u64 v[2:3], s[36:37], 0, v[0:1]
	s_and_saveexec_b64 s[36:37], vcc
	s_cbranch_execz .LBB13_37
; %bb.36:
	global_store_byte v[2:3], v7, off
.LBB13_37:
	s_or_b64 exec, exec, s[36:37]
	s_and_saveexec_b64 s[36:37], s[0:1]
	s_cbranch_execz .LBB13_39
; %bb.38:
	v_lshrrev_b32_e32 v8, 8, v7
	global_store_byte v[2:3], v8, off offset:256
.LBB13_39:
	s_or_b64 exec, exec, s[36:37]
	s_mov_b32 s0, 0x7060104
	v_perm_b32 v8, v7, v7, s0
	v_cndmask_b32_e64 v9, v8, v7, s[2:3]
	s_and_saveexec_b64 s[0:1], s[2:3]
	s_cbranch_execz .LBB13_41
; %bb.40:
	global_store_byte_d16_hi v[2:3], v9, off offset:512
.LBB13_41:
	s_or_b64 exec, exec, s[0:1]
	s_mov_b32 s0, 0x7020504
	v_perm_b32 v8, v8, v9, s0
	v_cndmask_b32_e64 v7, v8, v7, s[4:5]
	s_and_saveexec_b64 s[0:1], s[4:5]
	s_cbranch_execz .LBB13_43
; %bb.42:
	v_lshrrev_b32_e32 v7, 24, v7
	global_store_byte v[2:3], v7, off offset:768
.LBB13_43:
	s_or_b64 exec, exec, s[0:1]
	s_and_saveexec_b64 s[0:1], s[6:7]
	s_cbranch_execz .LBB13_45
; %bb.44:
	global_store_byte v[2:3], v6, off offset:1024
.LBB13_45:
	s_or_b64 exec, exec, s[0:1]
	s_mov_b32 s0, 0x3020104
	v_perm_b32 v7, v6, v6, s0
	v_cndmask_b32_e64 v8, v7, v6, s[8:9]
	s_and_saveexec_b64 s[0:1], s[8:9]
	s_cbranch_execz .LBB13_47
; %bb.46:
	v_lshrrev_b32_e32 v9, 8, v8
	global_store_byte v[2:3], v9, off offset:1280
.LBB13_47:
	s_or_b64 exec, exec, s[0:1]
	s_mov_b32 s0, 0x7060104
	v_perm_b32 v7, v7, v8, s0
	v_cndmask_b32_e64 v8, v7, v6, s[10:11]
	s_and_saveexec_b64 s[0:1], s[10:11]
	s_cbranch_execz .LBB13_49
; %bb.48:
	global_store_byte_d16_hi v[2:3], v8, off offset:1536
.LBB13_49:
	s_or_b64 exec, exec, s[0:1]
	s_mov_b32 s0, 0x7020504
	v_perm_b32 v7, v7, v8, s0
	v_cndmask_b32_e64 v6, v7, v6, s[12:13]
	s_and_saveexec_b64 s[0:1], s[12:13]
	s_cbranch_execz .LBB13_51
; %bb.50:
	v_lshrrev_b32_e32 v6, 24, v6
	global_store_byte v[2:3], v6, off offset:1792
.LBB13_51:
	s_or_b64 exec, exec, s[0:1]
	s_and_saveexec_b64 s[0:1], s[14:15]
	s_cbranch_execz .LBB13_53
; %bb.52:
	global_store_byte v[2:3], v5, off offset:2048
.LBB13_53:
	s_or_b64 exec, exec, s[0:1]
	s_mov_b32 s0, 0x3020104
	v_perm_b32 v6, v5, v5, s0
	v_cndmask_b32_e64 v7, v6, v5, s[16:17]
	;; [unrolled: 35-line block ×3, first 2 shown]
	s_and_saveexec_b64 s[0:1], s[24:25]
	s_cbranch_execz .LBB13_63
; %bb.62:
	v_lshrrev_b32_e32 v7, 8, v6
	global_store_byte v[2:3], v7, off offset:3328
.LBB13_63:
	s_or_b64 exec, exec, s[0:1]
	s_mov_b32 s0, 0x7060104
	v_perm_b32 v6, v5, v6, s0
	s_and_saveexec_b64 s[0:1], s[26:27]
	s_cbranch_execz .LBB13_65
; %bb.64:
	v_cndmask_b32_e64 v5, v6, v4, s[26:27]
	global_store_byte_d16_hi v[2:3], v5, off offset:3584
.LBB13_65:
	s_or_b64 exec, exec, s[0:1]
                                        ; implicit-def: $vgpr5
	s_and_saveexec_b64 s[0:1], s[28:29]
; %bb.66:
	v_cndmask_b32_e64 v2, v6, v4, s[28:29]
	v_lshrrev_b32_e32 v5, 24, v2
	s_or_b64 s[34:35], s[34:35], exec
; %bb.67:
	s_or_b64 exec, exec, s[0:1]
.LBB13_68:
	s_and_saveexec_b64 s[0:1], s[34:35]
	s_cbranch_execnz .LBB13_70
; %bb.69:
	s_endpgm
.LBB13_70:
	s_add_u32 s0, s30, s33
	s_addc_u32 s1, s31, 0
	v_lshl_add_u64 v[0:1], s[0:1], 0, v[0:1]
	s_waitcnt vmcnt(15)
	global_store_byte v[0:1], v5, off offset:3840
	s_endpgm
	.section	.rodata,"a",@progbits
	.p2align	6, 0x0
	.amdhsa_kernel _ZN7rocprim17ROCPRIM_304000_NS6detail16transform_kernelINS1_24wrapped_transform_configINS0_14default_configEaEEaPaS6_NS0_8identityIaEEEEvT1_mT2_T3_
		.amdhsa_group_segment_fixed_size 0
		.amdhsa_private_segment_fixed_size 0
		.amdhsa_kernarg_size 288
		.amdhsa_user_sgpr_count 2
		.amdhsa_user_sgpr_dispatch_ptr 0
		.amdhsa_user_sgpr_queue_ptr 0
		.amdhsa_user_sgpr_kernarg_segment_ptr 1
		.amdhsa_user_sgpr_dispatch_id 0
		.amdhsa_user_sgpr_kernarg_preload_length 0
		.amdhsa_user_sgpr_kernarg_preload_offset 0
		.amdhsa_user_sgpr_private_segment_size 0
		.amdhsa_uses_dynamic_stack 0
		.amdhsa_enable_private_segment 0
		.amdhsa_system_sgpr_workgroup_id_x 1
		.amdhsa_system_sgpr_workgroup_id_y 0
		.amdhsa_system_sgpr_workgroup_id_z 0
		.amdhsa_system_sgpr_workgroup_info 0
		.amdhsa_system_vgpr_workitem_id 0
		.amdhsa_next_free_vgpr 22
		.amdhsa_next_free_sgpr 38
		.amdhsa_accum_offset 24
		.amdhsa_reserve_vcc 1
		.amdhsa_float_round_mode_32 0
		.amdhsa_float_round_mode_16_64 0
		.amdhsa_float_denorm_mode_32 3
		.amdhsa_float_denorm_mode_16_64 3
		.amdhsa_dx10_clamp 1
		.amdhsa_ieee_mode 1
		.amdhsa_fp16_overflow 0
		.amdhsa_tg_split 0
		.amdhsa_exception_fp_ieee_invalid_op 0
		.amdhsa_exception_fp_denorm_src 0
		.amdhsa_exception_fp_ieee_div_zero 0
		.amdhsa_exception_fp_ieee_overflow 0
		.amdhsa_exception_fp_ieee_underflow 0
		.amdhsa_exception_fp_ieee_inexact 0
		.amdhsa_exception_int_div_zero 0
	.end_amdhsa_kernel
	.section	.text._ZN7rocprim17ROCPRIM_304000_NS6detail16transform_kernelINS1_24wrapped_transform_configINS0_14default_configEaEEaPaS6_NS0_8identityIaEEEEvT1_mT2_T3_,"axG",@progbits,_ZN7rocprim17ROCPRIM_304000_NS6detail16transform_kernelINS1_24wrapped_transform_configINS0_14default_configEaEEaPaS6_NS0_8identityIaEEEEvT1_mT2_T3_,comdat
.Lfunc_end13:
	.size	_ZN7rocprim17ROCPRIM_304000_NS6detail16transform_kernelINS1_24wrapped_transform_configINS0_14default_configEaEEaPaS6_NS0_8identityIaEEEEvT1_mT2_T3_, .Lfunc_end13-_ZN7rocprim17ROCPRIM_304000_NS6detail16transform_kernelINS1_24wrapped_transform_configINS0_14default_configEaEEaPaS6_NS0_8identityIaEEEEvT1_mT2_T3_
                                        ; -- End function
	.section	.AMDGPU.csdata,"",@progbits
; Kernel info:
; codeLenInByte = 1768
; NumSgprs: 44
; NumVgprs: 22
; NumAgprs: 0
; TotalNumVgprs: 22
; ScratchSize: 0
; MemoryBound: 0
; FloatMode: 240
; IeeeMode: 1
; LDSByteSize: 0 bytes/workgroup (compile time only)
; SGPRBlocks: 5
; VGPRBlocks: 2
; NumSGPRsForWavesPerEU: 44
; NumVGPRsForWavesPerEU: 22
; AccumOffset: 24
; Occupancy: 8
; WaveLimiterHint : 1
; COMPUTE_PGM_RSRC2:SCRATCH_EN: 0
; COMPUTE_PGM_RSRC2:USER_SGPR: 2
; COMPUTE_PGM_RSRC2:TRAP_HANDLER: 0
; COMPUTE_PGM_RSRC2:TGID_X_EN: 1
; COMPUTE_PGM_RSRC2:TGID_Y_EN: 0
; COMPUTE_PGM_RSRC2:TGID_Z_EN: 0
; COMPUTE_PGM_RSRC2:TIDIG_COMP_CNT: 0
; COMPUTE_PGM_RSRC3_GFX90A:ACCUM_OFFSET: 5
; COMPUTE_PGM_RSRC3_GFX90A:TG_SPLIT: 0
	.section	.text._ZN7rocprim17ROCPRIM_304000_NS6detail18single_scan_kernelILb0ENS1_19wrapped_scan_configINS0_14default_configEaEEPKaPaSt10multipliesIaEaaEEvT1_mT4_T2_T3_,"axG",@progbits,_ZN7rocprim17ROCPRIM_304000_NS6detail18single_scan_kernelILb0ENS1_19wrapped_scan_configINS0_14default_configEaEEPKaPaSt10multipliesIaEaaEEvT1_mT4_T2_T3_,comdat
	.protected	_ZN7rocprim17ROCPRIM_304000_NS6detail18single_scan_kernelILb0ENS1_19wrapped_scan_configINS0_14default_configEaEEPKaPaSt10multipliesIaEaaEEvT1_mT4_T2_T3_ ; -- Begin function _ZN7rocprim17ROCPRIM_304000_NS6detail18single_scan_kernelILb0ENS1_19wrapped_scan_configINS0_14default_configEaEEPKaPaSt10multipliesIaEaaEEvT1_mT4_T2_T3_
	.globl	_ZN7rocprim17ROCPRIM_304000_NS6detail18single_scan_kernelILb0ENS1_19wrapped_scan_configINS0_14default_configEaEEPKaPaSt10multipliesIaEaaEEvT1_mT4_T2_T3_
	.p2align	8
	.type	_ZN7rocprim17ROCPRIM_304000_NS6detail18single_scan_kernelILb0ENS1_19wrapped_scan_configINS0_14default_configEaEEPKaPaSt10multipliesIaEaaEEvT1_mT4_T2_T3_,@function
_ZN7rocprim17ROCPRIM_304000_NS6detail18single_scan_kernelILb0ENS1_19wrapped_scan_configINS0_14default_configEaEEPKaPaSt10multipliesIaEaaEEvT1_mT4_T2_T3_: ; @_ZN7rocprim17ROCPRIM_304000_NS6detail18single_scan_kernelILb0ENS1_19wrapped_scan_configINS0_14default_configEaEEPKaPaSt10multipliesIaEaaEEvT1_mT4_T2_T3_
; %bb.0:
	s_load_dwordx4 s[48:51], s[0:1], 0x0
	v_mov_b32_e32 v1, 0
	s_waitcnt lgkmcnt(0)
	global_load_ubyte v4, v1, s[48:49]
	v_lshl_add_u64 v[2:3], s[48:49], 0, v[0:1]
	v_cmp_gt_u32_e64 s[38:39], s50, v0
	s_waitcnt vmcnt(0)
	v_mov_b32_e32 v5, v4
	s_and_saveexec_b64 s[2:3], s[38:39]
	s_cbranch_execz .LBB14_2
; %bb.1:
	global_load_ubyte v5, v[2:3], off
.LBB14_2:
	s_or_b64 exec, exec, s[2:3]
	v_or_b32_e32 v6, 0x100, v0
	v_cmp_gt_u32_e64 s[2:3], s50, v6
	v_mov_b32_e32 v6, v4
	s_and_saveexec_b64 s[4:5], s[2:3]
	s_cbranch_execz .LBB14_4
; %bb.3:
	global_load_ubyte v6, v[2:3], off offset:256
.LBB14_4:
	s_or_b64 exec, exec, s[4:5]
	v_or_b32_e32 v7, 0x200, v0
	v_cmp_gt_u32_e64 s[4:5], s50, v7
	v_mov_b32_e32 v7, v4
	s_and_saveexec_b64 s[6:7], s[4:5]
	s_cbranch_execz .LBB14_6
; %bb.5:
	global_load_ubyte v7, v[2:3], off offset:512
.LBB14_6:
	;; [unrolled: 9-line block ×15, first 2 shown]
	s_or_b64 exec, exec, s[34:35]
	v_or_b32_e32 v21, 0x1000, v0
	v_cmp_gt_u32_e64 s[34:35], s50, v21
	v_mov_b32_e32 v21, v4
	s_and_saveexec_b64 s[36:37], s[34:35]
	s_cbranch_execz .LBB14_34
; %bb.33:
	v_add_co_u32_e32 v22, vcc, 0x1000, v2
	s_nop 1
	v_addc_co_u32_e32 v23, vcc, 0, v3, vcc
	global_load_ubyte v21, v[22:23], off
.LBB14_34:
	s_or_b64 exec, exec, s[36:37]
	v_or_b32_e32 v22, 0x1100, v0
	v_cmp_gt_u32_e64 s[36:37], s50, v22
	v_mov_b32_e32 v22, v4
	s_and_saveexec_b64 s[40:41], s[36:37]
	s_cbranch_execz .LBB14_36
; %bb.35:
	v_add_co_u32_e32 v22, vcc, 0x1000, v2
	s_nop 1
	v_addc_co_u32_e32 v23, vcc, 0, v3, vcc
	global_load_ubyte v22, v[22:23], off offset:256
.LBB14_36:
	s_or_b64 exec, exec, s[40:41]
	v_or_b32_e32 v23, 0x1200, v0
	v_cmp_gt_u32_e64 s[40:41], s50, v23
	v_mov_b32_e32 v23, v4
	s_and_saveexec_b64 s[42:43], s[40:41]
	s_cbranch_execz .LBB14_38
; %bb.37:
	v_add_co_u32_e32 v24, vcc, 0x1000, v2
	s_nop 1
	v_addc_co_u32_e32 v25, vcc, 0, v3, vcc
	global_load_ubyte v23, v[24:25], off offset:512
.LBB14_38:
	;; [unrolled: 12-line block ×6, first 2 shown]
	s_or_b64 exec, exec, s[52:53]
	v_or_b32_e32 v28, 0x1700, v0
	v_cmp_gt_u32_e64 s[50:51], s50, v28
	s_and_saveexec_b64 s[52:53], s[50:51]
	s_cbranch_execz .LBB14_48
; %bb.47:
	v_add_co_u32_e32 v2, vcc, 0x1000, v2
	s_nop 1
	v_addc_co_u32_e32 v3, vcc, 0, v3, vcc
	global_load_ubyte v4, v[2:3], off offset:1792
.LBB14_48:
	s_or_b64 exec, exec, s[52:53]
	s_waitcnt vmcnt(0)
	ds_write_b8 v0, v5
	ds_write_b8 v0, v6 offset:256
	ds_write_b8 v0, v7 offset:512
	;; [unrolled: 1-line block ×23, first 2 shown]
	v_mad_u32_u24 v6, v0, 23, v0
	s_waitcnt lgkmcnt(0)
	s_barrier
	ds_read2_b64 v[2:5], v6 offset1:1
	ds_read_b64 v[6:7], v6 offset:16
	s_waitcnt lgkmcnt(0)
	s_barrier
	v_lshrrev_b32_e32 v13, 8, v2
	v_mul_lo_u16_e32 v14, v13, v2
	v_mul_lo_u16_sdwa v14, v14, v2 dst_sel:DWORD dst_unused:UNUSED_PAD src0_sel:DWORD src1_sel:WORD_1
	v_mul_lo_u16_sdwa v14, v14, v2 dst_sel:DWORD dst_unused:UNUSED_PAD src0_sel:DWORD src1_sel:BYTE_3
	v_lshrrev_b32_e32 v12, 8, v3
	v_mul_lo_u16_e32 v14, v14, v3
	v_mul_lo_u16_e32 v14, v14, v12
	v_mul_lo_u16_sdwa v14, v14, v3 dst_sel:DWORD dst_unused:UNUSED_PAD src0_sel:DWORD src1_sel:WORD_1
	v_mul_lo_u16_sdwa v14, v14, v3 dst_sel:DWORD dst_unused:UNUSED_PAD src0_sel:DWORD src1_sel:BYTE_3
	v_lshrrev_b32_e32 v11, 8, v4
	v_mul_lo_u16_e32 v14, v14, v4
	;; [unrolled: 5-line block ×5, first 2 shown]
	v_mul_lo_u16_e32 v14, v14, v8
	v_mul_lo_u16_sdwa v14, v14, v7 dst_sel:DWORD dst_unused:UNUSED_PAD src0_sel:DWORD src1_sel:WORD_1
	v_mul_lo_u16_sdwa v15, v14, v7 dst_sel:DWORD dst_unused:UNUSED_PAD src0_sel:DWORD src1_sel:BYTE_3
	v_mbcnt_lo_u32_b32 v14, -1, 0
	v_and_b32_e32 v17, 0xff, v15
	v_mbcnt_hi_u32_b32 v14, -1, v14
	v_and_b32_e32 v16, 15, v14
	v_mov_b32_dpp v18, v17 row_shr:1 row_mask:0xf bank_mask:0xf
	v_mul_lo_u16_e32 v18, v15, v18
	v_and_b32_e32 v19, 0xff, v18
	v_cmp_eq_u32_e32 vcc, 0, v16
	s_nop 1
	v_cndmask_b32_e32 v17, v19, v17, vcc
	v_cndmask_b32_e32 v15, v18, v15, vcc
	v_cmp_lt_u32_e32 vcc, 1, v16
	v_mov_b32_dpp v18, v17 row_shr:2 row_mask:0xf bank_mask:0xf
	v_mul_lo_u16_e32 v18, v15, v18
	v_and_b32_e32 v19, 0xff, v18
	v_cndmask_b32_e32 v17, v17, v19, vcc
	v_cndmask_b32_e32 v15, v15, v18, vcc
	v_cmp_lt_u32_e32 vcc, 3, v16
	v_mov_b32_dpp v18, v17 row_shr:4 row_mask:0xf bank_mask:0xf
	v_mul_lo_u16_e32 v18, v15, v18
	v_and_b32_e32 v19, 0xff, v18
	;; [unrolled: 6-line block ×3, first 2 shown]
	v_cndmask_b32_e32 v16, v17, v19, vcc
	v_cndmask_b32_e32 v15, v15, v18, vcc
	v_and_b32_e32 v18, 16, v14
	v_mov_b32_dpp v17, v16 row_bcast:15 row_mask:0xf bank_mask:0xf
	v_mul_lo_u16_e32 v17, v15, v17
	v_and_b32_e32 v19, 0xff, v17
	v_cmp_eq_u32_e32 vcc, 0, v18
	s_nop 1
	v_cndmask_b32_e32 v16, v19, v16, vcc
	v_cndmask_b32_e32 v15, v17, v15, vcc
	v_cmp_lt_u32_e32 vcc, 31, v14
	v_mov_b32_dpp v16, v16 row_bcast:31 row_mask:0xf bank_mask:0xf
	v_lshrrev_b32_e32 v17, 6, v0
	v_cndmask_b32_e32 v16, 1, v16, vcc
	v_mul_lo_u16_e32 v15, v15, v16
	v_or_b32_e32 v16, 63, v0
	v_cmp_eq_u32_e32 vcc, v16, v0
	s_and_saveexec_b64 s[52:53], vcc
	s_cbranch_execz .LBB14_50
; %bb.49:
	ds_write_b8 v17, v15
.LBB14_50:
	s_or_b64 exec, exec, s[52:53]
	v_cmp_gt_u32_e32 vcc, 4, v0
	s_waitcnt lgkmcnt(0)
	s_barrier
	s_and_saveexec_b64 s[52:53], vcc
	s_cbranch_execz .LBB14_52
; %bb.51:
	ds_read_u8 v16, v0
	v_and_b32_e32 v18, 3, v14
	v_cmp_eq_u32_e32 vcc, 0, v18
	s_waitcnt lgkmcnt(0)
	v_and_b32_e32 v19, 0xff, v16
	s_nop 1
	v_mov_b32_dpp v20, v19 row_shr:1 row_mask:0xf bank_mask:0xf
	v_mul_lo_u16_e32 v20, v16, v20
	v_and_b32_e32 v21, 0xff, v20
	v_cndmask_b32_e32 v19, v21, v19, vcc
	v_cndmask_b32_e32 v16, v20, v16, vcc
	v_cmp_lt_u32_e32 vcc, 1, v18
	v_mov_b32_dpp v19, v19 row_shr:2 row_mask:0xf bank_mask:0xf
	s_nop 0
	v_cndmask_b32_e32 v18, 1, v19, vcc
	v_mul_lo_u16_e32 v16, v16, v18
	ds_write_b8 v0, v16
.LBB14_52:
	s_or_b64 exec, exec, s[52:53]
	v_mul_u32_u24_e32 v16, 23, v0
	v_cmp_lt_u32_e32 vcc, 63, v0
	s_waitcnt lgkmcnt(0)
	s_barrier
	s_waitcnt lgkmcnt(0)
                                        ; implicit-def: $vgpr18
	s_and_saveexec_b64 s[52:53], vcc
	s_cbranch_execz .LBB14_54
; %bb.53:
	v_add_u32_e32 v17, -1, v17
	ds_read_u8 v18, v17
	s_waitcnt lgkmcnt(0)
	v_mul_lo_u16_e32 v15, v18, v15
.LBB14_54:
	s_or_b64 exec, exec, s[52:53]
	v_add_u32_e32 v17, -1, v14
	v_and_b32_e32 v19, 64, v14
	v_cmp_lt_i32_e32 vcc, v17, v19
	v_and_b32_e32 v15, 0xff, v15
	v_add_u32_e32 v16, v0, v16
	v_cndmask_b32_e32 v17, v17, v14, vcc
	v_lshlrev_b32_e32 v17, 2, v17
	ds_bpermute_b32 v15, v17, v15
	v_cmp_eq_u32_e32 vcc, 0, v14
	s_waitcnt lgkmcnt(0)
	s_barrier
	v_cndmask_b32_e32 v14, v15, v18, vcc
	v_cmp_ne_u32_e32 vcc, 0, v0
	s_load_dwordx2 s[0:1], s[0:1], 0x18
	s_nop 0
	v_cndmask_b32_e32 v14, 1, v14, vcc
	v_mul_lo_u16_e32 v14, v14, v2
	v_mul_lo_u16_e32 v13, v14, v13
	v_mul_lo_u16_sdwa v15, v13, v2 dst_sel:DWORD dst_unused:UNUSED_PAD src0_sel:DWORD src1_sel:WORD_1
	v_mul_lo_u16_sdwa v2, v15, v2 dst_sel:DWORD dst_unused:UNUSED_PAD src0_sel:DWORD src1_sel:BYTE_3
	v_mul_lo_u16_e32 v17, v2, v3
	v_mul_lo_u16_e32 v12, v17, v12
	v_mul_lo_u16_sdwa v18, v12, v3 dst_sel:DWORD dst_unused:UNUSED_PAD src0_sel:DWORD src1_sel:WORD_1
	v_mul_lo_u16_sdwa v3, v18, v3 dst_sel:DWORD dst_unused:UNUSED_PAD src0_sel:DWORD src1_sel:BYTE_3
	;; [unrolled: 4-line block ×5, first 2 shown]
	v_lshlrev_b16_e32 v13, 8, v13
	v_lshlrev_b16_e32 v2, 8, v2
	;; [unrolled: 1-line block ×8, first 2 shown]
	v_mul_lo_u16_e32 v25, v6, v7
	v_or_b32_sdwa v13, v14, v13 dst_sel:DWORD dst_unused:UNUSED_PAD src0_sel:BYTE_0 src1_sel:DWORD
	v_or_b32_sdwa v2, v15, v2 dst_sel:WORD_1 dst_unused:UNUSED_PAD src0_sel:BYTE_0 src1_sel:DWORD
	v_or_b32_sdwa v12, v17, v12 dst_sel:DWORD dst_unused:UNUSED_PAD src0_sel:BYTE_0 src1_sel:DWORD
	v_or_b32_sdwa v3, v18, v3 dst_sel:WORD_1 dst_unused:UNUSED_PAD src0_sel:BYTE_0 src1_sel:DWORD
	;; [unrolled: 2-line block ×4, first 2 shown]
	v_mul_lo_u16_e32 v8, v25, v8
	v_or_b32_sdwa v2, v13, v2 dst_sel:DWORD dst_unused:UNUSED_PAD src0_sel:WORD_0 src1_sel:DWORD
	v_or_b32_sdwa v3, v12, v3 dst_sel:DWORD dst_unused:UNUSED_PAD src0_sel:WORD_0 src1_sel:DWORD
	;; [unrolled: 1-line block ×4, first 2 shown]
	v_mul_lo_u16_sdwa v26, v8, v7 dst_sel:DWORD dst_unused:UNUSED_PAD src0_sel:DWORD src1_sel:WORD_1
	ds_write2_b64 v16, v[2:3], v[4:5] offset1:1
	v_lshlrev_b16_e32 v2, 8, v9
	v_lshlrev_b16_e32 v3, 8, v6
	v_mul_lo_u16_sdwa v7, v26, v7 dst_sel:DWORD dst_unused:UNUSED_PAD src0_sel:DWORD src1_sel:BYTE_3
	v_or_b32_sdwa v2, v23, v2 dst_sel:DWORD dst_unused:UNUSED_PAD src0_sel:BYTE_0 src1_sel:DWORD
	v_or_b32_sdwa v3, v24, v3 dst_sel:WORD_1 dst_unused:UNUSED_PAD src0_sel:BYTE_0 src1_sel:DWORD
	v_lshlrev_b16_e32 v4, 8, v7
	v_or_b32_sdwa v2, v2, v3 dst_sel:DWORD dst_unused:UNUSED_PAD src0_sel:WORD_0 src1_sel:DWORD
	v_lshlrev_b16_e32 v3, 8, v8
	v_or_b32_sdwa v3, v25, v3 dst_sel:DWORD dst_unused:UNUSED_PAD src0_sel:BYTE_0 src1_sel:DWORD
	v_or_b32_sdwa v4, v26, v4 dst_sel:WORD_1 dst_unused:UNUSED_PAD src0_sel:BYTE_0 src1_sel:DWORD
	s_nop 0
	v_or_b32_sdwa v3, v3, v4 dst_sel:DWORD dst_unused:UNUSED_PAD src0_sel:WORD_0 src1_sel:DWORD
	ds_write_b64 v16, v[2:3] offset:16
	s_waitcnt lgkmcnt(0)
	s_barrier
	ds_read_u8 v26, v0 offset:256
	ds_read_u8 v25, v0 offset:512
	;; [unrolled: 1-line block ×23, first 2 shown]
	v_lshl_add_u64 v[2:3], s[0:1], 0, v[0:1]
	s_and_saveexec_b64 s[0:1], s[38:39]
	s_cbranch_execnz .LBB14_79
; %bb.55:
	s_or_b64 exec, exec, s[0:1]
	s_and_saveexec_b64 s[0:1], s[2:3]
	s_cbranch_execnz .LBB14_80
.LBB14_56:
	s_or_b64 exec, exec, s[0:1]
	s_and_saveexec_b64 s[0:1], s[4:5]
	s_cbranch_execnz .LBB14_81
.LBB14_57:
	s_or_b64 exec, exec, s[0:1]
	s_and_saveexec_b64 s[0:1], s[6:7]
	s_cbranch_execnz .LBB14_82
.LBB14_58:
	s_or_b64 exec, exec, s[0:1]
	s_and_saveexec_b64 s[0:1], s[8:9]
	s_cbranch_execnz .LBB14_83
.LBB14_59:
	s_or_b64 exec, exec, s[0:1]
	s_and_saveexec_b64 s[0:1], s[10:11]
	s_cbranch_execnz .LBB14_84
.LBB14_60:
	s_or_b64 exec, exec, s[0:1]
	s_and_saveexec_b64 s[0:1], s[12:13]
	s_cbranch_execnz .LBB14_85
.LBB14_61:
	s_or_b64 exec, exec, s[0:1]
	s_and_saveexec_b64 s[0:1], s[14:15]
	s_cbranch_execnz .LBB14_86
.LBB14_62:
	s_or_b64 exec, exec, s[0:1]
	s_and_saveexec_b64 s[0:1], s[16:17]
	s_cbranch_execnz .LBB14_87
.LBB14_63:
	s_or_b64 exec, exec, s[0:1]
	s_and_saveexec_b64 s[0:1], s[18:19]
	s_cbranch_execnz .LBB14_88
.LBB14_64:
	s_or_b64 exec, exec, s[0:1]
	s_and_saveexec_b64 s[0:1], s[20:21]
	s_cbranch_execnz .LBB14_89
.LBB14_65:
	s_or_b64 exec, exec, s[0:1]
	s_and_saveexec_b64 s[0:1], s[22:23]
	s_cbranch_execnz .LBB14_90
.LBB14_66:
	s_or_b64 exec, exec, s[0:1]
	s_and_saveexec_b64 s[0:1], s[24:25]
	s_cbranch_execnz .LBB14_91
.LBB14_67:
	s_or_b64 exec, exec, s[0:1]
	s_and_saveexec_b64 s[0:1], s[26:27]
	s_cbranch_execnz .LBB14_92
.LBB14_68:
	s_or_b64 exec, exec, s[0:1]
	s_and_saveexec_b64 s[0:1], s[28:29]
	s_cbranch_execnz .LBB14_93
.LBB14_69:
	s_or_b64 exec, exec, s[0:1]
	s_and_saveexec_b64 s[0:1], s[30:31]
	s_cbranch_execnz .LBB14_94
.LBB14_70:
	s_or_b64 exec, exec, s[0:1]
	s_and_saveexec_b64 s[0:1], s[34:35]
	s_cbranch_execnz .LBB14_95
.LBB14_71:
	s_or_b64 exec, exec, s[0:1]
	s_and_saveexec_b64 s[0:1], s[36:37]
	s_cbranch_execnz .LBB14_96
.LBB14_72:
	s_or_b64 exec, exec, s[0:1]
	s_and_saveexec_b64 s[0:1], s[40:41]
	s_cbranch_execnz .LBB14_97
.LBB14_73:
	s_or_b64 exec, exec, s[0:1]
	s_and_saveexec_b64 s[0:1], s[42:43]
	s_cbranch_execnz .LBB14_98
.LBB14_74:
	s_or_b64 exec, exec, s[0:1]
	s_and_saveexec_b64 s[0:1], s[44:45]
	s_cbranch_execnz .LBB14_99
.LBB14_75:
	s_or_b64 exec, exec, s[0:1]
	s_and_saveexec_b64 s[0:1], s[46:47]
	s_cbranch_execnz .LBB14_100
.LBB14_76:
	s_or_b64 exec, exec, s[0:1]
	s_and_saveexec_b64 s[0:1], s[48:49]
	s_cbranch_execnz .LBB14_101
.LBB14_77:
	s_or_b64 exec, exec, s[0:1]
	s_and_saveexec_b64 s[0:1], s[50:51]
	s_cbranch_execnz .LBB14_102
.LBB14_78:
	s_endpgm
.LBB14_79:
	ds_read_u8 v0, v0
	s_waitcnt lgkmcnt(0)
	global_store_byte v[2:3], v0, off
	s_or_b64 exec, exec, s[0:1]
	s_and_saveexec_b64 s[0:1], s[2:3]
	s_cbranch_execz .LBB14_56
.LBB14_80:
	s_waitcnt lgkmcnt(14)
	global_store_byte v[2:3], v26, off offset:256
	s_or_b64 exec, exec, s[0:1]
	s_and_saveexec_b64 s[0:1], s[4:5]
	s_cbranch_execz .LBB14_57
.LBB14_81:
	s_waitcnt lgkmcnt(14)
	global_store_byte v[2:3], v25, off offset:512
	s_or_b64 exec, exec, s[0:1]
	s_and_saveexec_b64 s[0:1], s[6:7]
	s_cbranch_execz .LBB14_58
.LBB14_82:
	s_waitcnt lgkmcnt(14)
	global_store_byte v[2:3], v24, off offset:768
	s_or_b64 exec, exec, s[0:1]
	s_and_saveexec_b64 s[0:1], s[8:9]
	s_cbranch_execz .LBB14_59
.LBB14_83:
	s_waitcnt lgkmcnt(14)
	global_store_byte v[2:3], v23, off offset:1024
	s_or_b64 exec, exec, s[0:1]
	s_and_saveexec_b64 s[0:1], s[10:11]
	s_cbranch_execz .LBB14_60
.LBB14_84:
	s_waitcnt lgkmcnt(14)
	global_store_byte v[2:3], v22, off offset:1280
	s_or_b64 exec, exec, s[0:1]
	s_and_saveexec_b64 s[0:1], s[12:13]
	s_cbranch_execz .LBB14_61
.LBB14_85:
	s_waitcnt lgkmcnt(14)
	global_store_byte v[2:3], v21, off offset:1536
	s_or_b64 exec, exec, s[0:1]
	s_and_saveexec_b64 s[0:1], s[14:15]
	s_cbranch_execz .LBB14_62
.LBB14_86:
	s_waitcnt lgkmcnt(14)
	global_store_byte v[2:3], v20, off offset:1792
	s_or_b64 exec, exec, s[0:1]
	s_and_saveexec_b64 s[0:1], s[16:17]
	s_cbranch_execz .LBB14_63
.LBB14_87:
	s_waitcnt lgkmcnt(14)
	global_store_byte v[2:3], v19, off offset:2048
	s_or_b64 exec, exec, s[0:1]
	s_and_saveexec_b64 s[0:1], s[18:19]
	s_cbranch_execz .LBB14_64
.LBB14_88:
	s_waitcnt lgkmcnt(14)
	global_store_byte v[2:3], v18, off offset:2304
	s_or_b64 exec, exec, s[0:1]
	s_and_saveexec_b64 s[0:1], s[20:21]
	s_cbranch_execz .LBB14_65
.LBB14_89:
	s_waitcnt lgkmcnt(13)
	global_store_byte v[2:3], v17, off offset:2560
	s_or_b64 exec, exec, s[0:1]
	s_and_saveexec_b64 s[0:1], s[22:23]
	s_cbranch_execz .LBB14_66
.LBB14_90:
	s_waitcnt lgkmcnt(12)
	global_store_byte v[2:3], v16, off offset:2816
	s_or_b64 exec, exec, s[0:1]
	s_and_saveexec_b64 s[0:1], s[24:25]
	s_cbranch_execz .LBB14_67
.LBB14_91:
	s_waitcnt lgkmcnt(11)
	global_store_byte v[2:3], v15, off offset:3072
	s_or_b64 exec, exec, s[0:1]
	s_and_saveexec_b64 s[0:1], s[26:27]
	s_cbranch_execz .LBB14_68
.LBB14_92:
	s_waitcnt lgkmcnt(10)
	global_store_byte v[2:3], v14, off offset:3328
	s_or_b64 exec, exec, s[0:1]
	s_and_saveexec_b64 s[0:1], s[28:29]
	s_cbranch_execz .LBB14_69
.LBB14_93:
	s_waitcnt lgkmcnt(9)
	global_store_byte v[2:3], v13, off offset:3584
	s_or_b64 exec, exec, s[0:1]
	s_and_saveexec_b64 s[0:1], s[30:31]
	s_cbranch_execz .LBB14_70
.LBB14_94:
	s_waitcnt lgkmcnt(8)
	global_store_byte v[2:3], v12, off offset:3840
	s_or_b64 exec, exec, s[0:1]
	s_and_saveexec_b64 s[0:1], s[34:35]
	s_cbranch_execz .LBB14_71
.LBB14_95:
	v_add_co_u32_e32 v0, vcc, 0x1000, v2
	s_nop 1
	v_addc_co_u32_e32 v1, vcc, 0, v3, vcc
	s_waitcnt lgkmcnt(7)
	global_store_byte v[0:1], v11, off
	s_or_b64 exec, exec, s[0:1]
	s_and_saveexec_b64 s[0:1], s[36:37]
	s_cbranch_execz .LBB14_72
.LBB14_96:
	v_add_co_u32_e32 v0, vcc, 0x1000, v2
	s_nop 1
	v_addc_co_u32_e32 v1, vcc, 0, v3, vcc
	s_waitcnt lgkmcnt(6)
	global_store_byte v[0:1], v10, off offset:256
	s_or_b64 exec, exec, s[0:1]
	s_and_saveexec_b64 s[0:1], s[40:41]
	s_cbranch_execz .LBB14_73
.LBB14_97:
	v_add_co_u32_e32 v0, vcc, 0x1000, v2
	s_nop 1
	v_addc_co_u32_e32 v1, vcc, 0, v3, vcc
	s_waitcnt lgkmcnt(5)
	global_store_byte v[0:1], v9, off offset:512
	s_or_b64 exec, exec, s[0:1]
	s_and_saveexec_b64 s[0:1], s[42:43]
	s_cbranch_execz .LBB14_74
.LBB14_98:
	v_add_co_u32_e32 v0, vcc, 0x1000, v2
	s_nop 1
	v_addc_co_u32_e32 v1, vcc, 0, v3, vcc
	s_waitcnt lgkmcnt(4)
	global_store_byte v[0:1], v8, off offset:768
	s_or_b64 exec, exec, s[0:1]
	s_and_saveexec_b64 s[0:1], s[44:45]
	s_cbranch_execz .LBB14_75
.LBB14_99:
	v_add_co_u32_e32 v0, vcc, 0x1000, v2
	s_nop 1
	v_addc_co_u32_e32 v1, vcc, 0, v3, vcc
	s_waitcnt lgkmcnt(3)
	global_store_byte v[0:1], v7, off offset:1024
	s_or_b64 exec, exec, s[0:1]
	s_and_saveexec_b64 s[0:1], s[46:47]
	s_cbranch_execz .LBB14_76
.LBB14_100:
	v_add_co_u32_e32 v0, vcc, 0x1000, v2
	s_nop 1
	v_addc_co_u32_e32 v1, vcc, 0, v3, vcc
	s_waitcnt lgkmcnt(2)
	global_store_byte v[0:1], v6, off offset:1280
	s_or_b64 exec, exec, s[0:1]
	s_and_saveexec_b64 s[0:1], s[48:49]
	s_cbranch_execz .LBB14_77
.LBB14_101:
	v_add_co_u32_e32 v0, vcc, 0x1000, v2
	s_nop 1
	v_addc_co_u32_e32 v1, vcc, 0, v3, vcc
	s_waitcnt lgkmcnt(1)
	global_store_byte v[0:1], v5, off offset:1536
	s_or_b64 exec, exec, s[0:1]
	s_and_saveexec_b64 s[0:1], s[50:51]
	s_cbranch_execz .LBB14_78
.LBB14_102:
	v_add_co_u32_e32 v0, vcc, 0x1000, v2
	s_nop 1
	v_addc_co_u32_e32 v1, vcc, 0, v3, vcc
	s_waitcnt lgkmcnt(0)
	global_store_byte v[0:1], v4, off offset:1792
	s_endpgm
	.section	.rodata,"a",@progbits
	.p2align	6, 0x0
	.amdhsa_kernel _ZN7rocprim17ROCPRIM_304000_NS6detail18single_scan_kernelILb0ENS1_19wrapped_scan_configINS0_14default_configEaEEPKaPaSt10multipliesIaEaaEEvT1_mT4_T2_T3_
		.amdhsa_group_segment_fixed_size 6144
		.amdhsa_private_segment_fixed_size 0
		.amdhsa_kernarg_size 36
		.amdhsa_user_sgpr_count 2
		.amdhsa_user_sgpr_dispatch_ptr 0
		.amdhsa_user_sgpr_queue_ptr 0
		.amdhsa_user_sgpr_kernarg_segment_ptr 1
		.amdhsa_user_sgpr_dispatch_id 0
		.amdhsa_user_sgpr_kernarg_preload_length 0
		.amdhsa_user_sgpr_kernarg_preload_offset 0
		.amdhsa_user_sgpr_private_segment_size 0
		.amdhsa_uses_dynamic_stack 0
		.amdhsa_enable_private_segment 0
		.amdhsa_system_sgpr_workgroup_id_x 1
		.amdhsa_system_sgpr_workgroup_id_y 0
		.amdhsa_system_sgpr_workgroup_id_z 0
		.amdhsa_system_sgpr_workgroup_info 0
		.amdhsa_system_vgpr_workitem_id 0
		.amdhsa_next_free_vgpr 30
		.amdhsa_next_free_sgpr 54
		.amdhsa_accum_offset 32
		.amdhsa_reserve_vcc 1
		.amdhsa_float_round_mode_32 0
		.amdhsa_float_round_mode_16_64 0
		.amdhsa_float_denorm_mode_32 3
		.amdhsa_float_denorm_mode_16_64 3
		.amdhsa_dx10_clamp 1
		.amdhsa_ieee_mode 1
		.amdhsa_fp16_overflow 0
		.amdhsa_tg_split 0
		.amdhsa_exception_fp_ieee_invalid_op 0
		.amdhsa_exception_fp_denorm_src 0
		.amdhsa_exception_fp_ieee_div_zero 0
		.amdhsa_exception_fp_ieee_overflow 0
		.amdhsa_exception_fp_ieee_underflow 0
		.amdhsa_exception_fp_ieee_inexact 0
		.amdhsa_exception_int_div_zero 0
	.end_amdhsa_kernel
	.section	.text._ZN7rocprim17ROCPRIM_304000_NS6detail18single_scan_kernelILb0ENS1_19wrapped_scan_configINS0_14default_configEaEEPKaPaSt10multipliesIaEaaEEvT1_mT4_T2_T3_,"axG",@progbits,_ZN7rocprim17ROCPRIM_304000_NS6detail18single_scan_kernelILb0ENS1_19wrapped_scan_configINS0_14default_configEaEEPKaPaSt10multipliesIaEaaEEvT1_mT4_T2_T3_,comdat
.Lfunc_end14:
	.size	_ZN7rocprim17ROCPRIM_304000_NS6detail18single_scan_kernelILb0ENS1_19wrapped_scan_configINS0_14default_configEaEEPKaPaSt10multipliesIaEaaEEvT1_mT4_T2_T3_, .Lfunc_end14-_ZN7rocprim17ROCPRIM_304000_NS6detail18single_scan_kernelILb0ENS1_19wrapped_scan_configINS0_14default_configEaEEPKaPaSt10multipliesIaEaaEEvT1_mT4_T2_T3_
                                        ; -- End function
	.section	.AMDGPU.csdata,"",@progbits
; Kernel info:
; codeLenInByte = 3556
; NumSgprs: 60
; NumVgprs: 30
; NumAgprs: 0
; TotalNumVgprs: 30
; ScratchSize: 0
; MemoryBound: 0
; FloatMode: 240
; IeeeMode: 1
; LDSByteSize: 6144 bytes/workgroup (compile time only)
; SGPRBlocks: 7
; VGPRBlocks: 3
; NumSGPRsForWavesPerEU: 60
; NumVGPRsForWavesPerEU: 30
; AccumOffset: 32
; Occupancy: 8
; WaveLimiterHint : 0
; COMPUTE_PGM_RSRC2:SCRATCH_EN: 0
; COMPUTE_PGM_RSRC2:USER_SGPR: 2
; COMPUTE_PGM_RSRC2:TRAP_HANDLER: 0
; COMPUTE_PGM_RSRC2:TGID_X_EN: 1
; COMPUTE_PGM_RSRC2:TGID_Y_EN: 0
; COMPUTE_PGM_RSRC2:TGID_Z_EN: 0
; COMPUTE_PGM_RSRC2:TIDIG_COMP_CNT: 0
; COMPUTE_PGM_RSRC3_GFX90A:ACCUM_OFFSET: 7
; COMPUTE_PGM_RSRC3_GFX90A:TG_SPLIT: 0
	.section	.text._ZN2at6native32tensor_kernel_scan_innermost_dimIaSt10multipliesIaEEEvPT_PKS4_jjjS4_T0_,"axG",@progbits,_ZN2at6native32tensor_kernel_scan_innermost_dimIaSt10multipliesIaEEEvPT_PKS4_jjjS4_T0_,comdat
	.protected	_ZN2at6native32tensor_kernel_scan_innermost_dimIaSt10multipliesIaEEEvPT_PKS4_jjjS4_T0_ ; -- Begin function _ZN2at6native32tensor_kernel_scan_innermost_dimIaSt10multipliesIaEEEvPT_PKS4_jjjS4_T0_
	.globl	_ZN2at6native32tensor_kernel_scan_innermost_dimIaSt10multipliesIaEEEvPT_PKS4_jjjS4_T0_
	.p2align	8
	.type	_ZN2at6native32tensor_kernel_scan_innermost_dimIaSt10multipliesIaEEEvPT_PKS4_jjjS4_T0_,@function
_ZN2at6native32tensor_kernel_scan_innermost_dimIaSt10multipliesIaEEEvPT_PKS4_jjjS4_T0_: ; @_ZN2at6native32tensor_kernel_scan_innermost_dimIaSt10multipliesIaEEEvPT_PKS4_jjjS4_T0_
; %bb.0:
	s_load_dwordx8 s[12:19], s[0:1], 0x0
	v_bfe_u32 v2, v0, 10, 10
	s_waitcnt lgkmcnt(0)
	s_lshl_b32 s3, 2, s18
	v_mul_lo_u32 v1, s3, v2
	s_mul_hi_u32 s4, s16, s17
	s_mov_b32 s20, s16
	v_add_u32_e32 v20, 0, v1
	s_cmp_lg_u32 s4, 0
	s_mov_b64 s[4:5], -1
	s_cbranch_scc1 .LBB15_26
; %bb.1:
	s_load_dword s6, s[0:1], 0x2c
	s_add_u32 s4, s0, 32
	s_addc_u32 s5, s1, 0
	s_waitcnt lgkmcnt(0)
	s_lshr_b32 s6, s6, 16
	s_mul_i32 s21, s2, s6
	s_cmp_ge_u32 s21, s16
	s_cbranch_scc1 .LBB15_25
; %bb.2:
	s_load_dword s26, s[4:5], 0x0
	s_cmp_lg_u32 s17, 0
	v_and_b32_e32 v1, 0x3ff, v0
	s_cselect_b64 s[4:5], -1, 0
	v_lshl_add_u32 v3, 1, s18, v1
	v_add_u32_e32 v12, -1, v20
	v_cndmask_b32_e64 v4, 0, 1, s[4:5]
	v_cmp_eq_u32_e64 s[8:9], 0, v1
	v_add_u32_e32 v13, s3, v12
	s_waitcnt lgkmcnt(0)
	s_mul_i32 s26, s26, s6
	s_add_i32 s27, s18, 1
	v_cmp_ne_u32_e64 s[4:5], 1, v4
	v_mov_b32_e32 v5, 0
	v_add_u32_e32 v14, v20, v1
	v_add_u32_e32 v15, v20, v3
	s_branch .LBB15_4
.LBB15_3:                               ;   in Loop: Header=BB15_4 Depth=1
	s_add_i32 s21, s21, s26
	s_cmp_ge_u32 s21, s16
	s_cbranch_scc1 .LBB15_25
.LBB15_4:                               ; =>This Loop Header: Depth=1
                                        ;     Child Loop BB15_7 Depth 2
                                        ;       Child Loop BB15_16 Depth 3
	s_and_b64 vcc, exec, s[4:5]
	s_cbranch_vccnz .LBB15_3
; %bb.5:                                ;   in Loop: Header=BB15_4 Depth=1
	v_add_u32_e32 v10, s21, v2
	v_mul_lo_u32 v4, v10, s17
	v_lshl_add_u64 v[6:7], s[14:15], 0, v[4:5]
	v_lshl_add_u64 v[8:9], s[12:13], 0, v[4:5]
	v_cmp_gt_u32_e32 vcc, s16, v10
	v_cmp_le_u32_e64 s[6:7], s16, v10
	s_mov_b32 s28, 0
	v_mov_b32_e32 v16, s19
	s_branch .LBB15_7
.LBB15_6:                               ;   in Loop: Header=BB15_7 Depth=2
	s_or_b64 exec, exec, s[22:23]
	ds_read_u8 v16, v13
	s_add_i32 s28, s28, s3
	s_cmp_ge_u32 s28, s17
	s_waitcnt lgkmcnt(0)
	s_barrier
	s_cbranch_scc1 .LBB15_3
.LBB15_7:                               ;   Parent Loop BB15_4 Depth=1
                                        ; =>  This Loop Header: Depth=2
                                        ;       Child Loop BB15_16 Depth 3
	v_add_u32_e32 v4, s28, v1
	v_add_u32_e32 v10, s28, v3
	s_and_saveexec_b64 s[22:23], vcc
	s_cbranch_execz .LBB15_14
; %bb.8:                                ;   in Loop: Header=BB15_7 Depth=2
	v_cmp_gt_u32_e64 s[10:11], s17, v4
	v_mov_b32_e32 v11, s19
	s_and_saveexec_b64 s[24:25], s[10:11]
	s_cbranch_execz .LBB15_10
; %bb.9:                                ;   in Loop: Header=BB15_7 Depth=2
	v_lshl_add_u64 v[18:19], v[6:7], 0, v[4:5]
	global_load_ubyte v11, v[18:19], off
.LBB15_10:                              ;   in Loop: Header=BB15_7 Depth=2
	s_or_b64 exec, exec, s[24:25]
	s_waitcnt vmcnt(0)
	ds_write_b8 v14, v11
	v_cmp_gt_u32_e64 s[10:11], s17, v10
	v_mov_b32_e32 v11, s19
	s_and_saveexec_b64 s[24:25], s[10:11]
	s_cbranch_execz .LBB15_12
; %bb.11:                               ;   in Loop: Header=BB15_7 Depth=2
	v_mov_b32_e32 v11, v5
	v_lshl_add_u64 v[18:19], v[6:7], 0, v[10:11]
	global_load_ubyte v11, v[18:19], off
.LBB15_12:                              ;   in Loop: Header=BB15_7 Depth=2
	s_or_b64 exec, exec, s[24:25]
	s_waitcnt vmcnt(0)
	ds_write_b8 v15, v11
	s_and_b64 exec, exec, s[8:9]
	s_cbranch_execz .LBB15_14
; %bb.13:                               ;   in Loop: Header=BB15_7 Depth=2
	ds_read_u8 v11, v20
	s_waitcnt lgkmcnt(0)
	v_mul_lo_u16_e32 v11, v11, v16
	ds_write_b8 v20, v11
.LBB15_14:                              ;   in Loop: Header=BB15_7 Depth=2
	s_or_b64 exec, exec, s[22:23]
	s_mov_b64 s[22:23], 0
	v_mov_b32_e32 v11, 0
	s_waitcnt lgkmcnt(0)
	s_barrier
	s_branch .LBB15_16
.LBB15_15:                              ;   in Loop: Header=BB15_16 Depth=3
	s_or_b64 exec, exec, s[10:11]
	v_cmp_eq_u32_e64 s[10:11], s27, v11
	s_or_b64 s[22:23], s[10:11], s[22:23]
	s_waitcnt lgkmcnt(0)
	s_barrier
	s_andn2_b64 exec, exec, s[22:23]
	s_cbranch_execz .LBB15_20
.LBB15_16:                              ;   Parent Loop BB15_4 Depth=1
                                        ;     Parent Loop BB15_7 Depth=2
                                        ; =>    This Inner Loop Header: Depth=3
	v_add_u32_e32 v16, 1, v11
	s_and_saveexec_b64 s[10:11], s[6:7]
	s_xor_b64 s[10:11], exec, s[10:11]
; %bb.17:                               ;   in Loop: Header=BB15_16 Depth=3
	v_add_u32_e32 v11, 1, v11
                                        ; implicit-def: $vgpr16
; %bb.18:                               ;   in Loop: Header=BB15_16 Depth=3
	s_andn2_saveexec_b64 s[10:11], s[10:11]
	s_cbranch_execz .LBB15_15
; %bb.19:                               ;   in Loop: Header=BB15_16 Depth=3
	v_lshlrev_b32_e64 v17, v11, 1
	v_lshrrev_b32_e32 v18, v11, v1
	v_bfm_b32 v11, v11, 0
	v_lshl_or_b32 v17, v18, v16, v17
	v_and_b32_e32 v11, v11, v1
	v_add3_u32 v11, v20, v17, v11
	v_add_u32_e32 v17, v12, v17
	ds_read_u8 v18, v11
	ds_read_u8 v17, v17
	s_waitcnt lgkmcnt(0)
	v_mul_lo_u16_e32 v17, v17, v18
	ds_write_b8 v11, v17
	v_mov_b32_e32 v11, v16
	s_branch .LBB15_15
.LBB15_20:                              ;   in Loop: Header=BB15_7 Depth=2
	s_or_b64 exec, exec, s[22:23]
	s_and_saveexec_b64 s[22:23], vcc
	s_cbranch_execz .LBB15_6
; %bb.21:                               ;   in Loop: Header=BB15_7 Depth=2
	v_cmp_gt_u32_e64 s[10:11], s17, v4
	s_and_saveexec_b64 s[24:25], s[10:11]
	s_cbranch_execz .LBB15_23
; %bb.22:                               ;   in Loop: Header=BB15_7 Depth=2
	ds_read_u8 v11, v14
	v_lshl_add_u64 v[16:17], v[8:9], 0, v[4:5]
	s_waitcnt lgkmcnt(0)
	global_store_byte v[16:17], v11, off
.LBB15_23:                              ;   in Loop: Header=BB15_7 Depth=2
	s_or_b64 exec, exec, s[24:25]
	v_cmp_gt_u32_e64 s[10:11], s17, v10
	s_and_b64 exec, exec, s[10:11]
	s_cbranch_execz .LBB15_6
; %bb.24:                               ;   in Loop: Header=BB15_7 Depth=2
	ds_read_u8 v4, v15
	v_mov_b32_e32 v11, v5
	v_lshl_add_u64 v[10:11], v[8:9], 0, v[10:11]
	s_waitcnt lgkmcnt(0)
	global_store_byte v[10:11], v4, off
	s_branch .LBB15_6
.LBB15_25:
	s_mov_b64 s[4:5], 0
.LBB15_26:
	s_andn2_b64 vcc, exec, s[4:5]
	s_cbranch_vccnz .LBB15_53
; %bb.27:
	s_load_dword s3, s[0:1], 0x2c
	s_add_u32 s0, s0, 32
	s_mov_b32 s21, 0
	s_addc_u32 s1, s1, 0
	v_mov_b64_e32 v[4:5], s[20:21]
	s_waitcnt lgkmcnt(0)
	s_lshr_b32 s3, s3, 16
	s_mul_hi_u32 s9, s3, s2
	s_mul_i32 s8, s3, s2
	v_cmp_ge_u64_e32 vcc, s[8:9], v[4:5]
	s_cbranch_vccnz .LBB15_53
; %bb.28:
	s_lshl_b32 s10, 1, s18
	s_load_dword s5, s[0:1], 0x0
	s_and_b32 s4, 0xffff, s3
	s_ashr_i32 s11, s10, 31
	s_cmp_lg_u32 s17, 0
	s_cselect_b64 s[2:3], -1, 0
	v_mov_b32_e32 v3, 0
	s_mov_b32 s22, s17
	s_mov_b32 s23, s21
	v_add_u32_e32 v4, -1, v20
	v_and_b32_e32 v0, 0x3ff, v0
	v_add_u32_e32 v6, s10, v20
	s_lshl_b64 s[16:17], s[10:11], 1
	v_cndmask_b32_e64 v5, 0, 1, s[2:3]
	v_mov_b32_e32 v1, v3
	v_cmp_eq_u32_e64 s[0:1], 0, v0
	s_waitcnt lgkmcnt(0)
	s_mul_i32 s33, s5, s4
	s_add_i32 s18, s18, 1
	v_cmp_ne_u32_e64 s[2:3], 1, v5
	v_add_u32_e32 v21, s16, v4
	v_mov_b64_e32 v[4:5], s[20:21]
	v_add_u32_e32 v22, v20, v0
	v_add_u32_e32 v23, v6, v0
	v_mov_b64_e32 v[6:7], s[22:23]
	s_branch .LBB15_30
.LBB15_29:                              ;   in Loop: Header=BB15_30 Depth=1
	s_add_u32 s8, s8, s33
	s_addc_u32 s9, s9, 0
	v_cmp_ge_u64_e32 vcc, s[8:9], v[4:5]
	s_cbranch_vccnz .LBB15_53
.LBB15_30:                              ; =>This Loop Header: Depth=1
                                        ;     Child Loop BB15_33 Depth 2
                                        ;       Child Loop BB15_43 Depth 3
	s_and_b64 vcc, exec, s[2:3]
	s_cbranch_vccnz .LBB15_29
; %bb.31:                               ;   in Loop: Header=BB15_30 Depth=1
	v_lshl_add_u64 v[12:13], s[8:9], 0, v[2:3]
	v_mov_b64_e32 v[8:9], s[14:15]
	v_mov_b64_e32 v[10:11], s[12:13]
	v_mad_u64_u32 v[8:9], s[4:5], v12, s22, v[8:9]
	v_mul_lo_u32 v14, v13, s22
	v_mad_u64_u32 v[10:11], s[4:5], v12, s22, v[10:11]
	v_add_u32_e32 v9, v14, v9
	v_add_u32_e32 v11, v14, v11
	v_cmp_gt_u64_e64 s[4:5], s[20:21], v[12:13]
	v_cmp_le_u64_e64 s[6:7], s[20:21], v[12:13]
	s_mov_b64 s[24:25], 0
	v_mov_b32_e32 v16, s19
	s_branch .LBB15_33
.LBB15_32:                              ;   in Loop: Header=BB15_33 Depth=2
	s_or_b64 exec, exec, s[26:27]
	ds_read_u8 v16, v21
	s_add_u32 s24, s24, s16
	s_addc_u32 s25, s25, s17
	v_cmp_ge_u64_e32 vcc, s[24:25], v[6:7]
	s_waitcnt lgkmcnt(0)
	s_barrier
	s_cbranch_vccnz .LBB15_29
.LBB15_33:                              ;   Parent Loop BB15_30 Depth=1
                                        ; =>  This Loop Header: Depth=2
                                        ;       Child Loop BB15_43 Depth 3
	v_lshl_add_u64 v[14:15], s[24:25], 0, v[0:1]
	v_lshl_add_u64 v[12:13], v[14:15], 0, s[10:11]
	s_and_saveexec_b64 s[26:27], s[4:5]
	s_cbranch_execz .LBB15_40
; %bb.34:                               ;   in Loop: Header=BB15_33 Depth=2
	v_cmp_gt_u64_e32 vcc, s[22:23], v[14:15]
	v_mov_b32_e32 v17, s19
	s_and_saveexec_b64 s[28:29], vcc
	s_cbranch_execz .LBB15_36
; %bb.35:                               ;   in Loop: Header=BB15_33 Depth=2
	v_lshl_add_u64 v[18:19], v[8:9], 0, v[14:15]
	global_load_ubyte v17, v[18:19], off
.LBB15_36:                              ;   in Loop: Header=BB15_33 Depth=2
	s_or_b64 exec, exec, s[28:29]
	s_waitcnt vmcnt(0)
	ds_write_b8 v22, v17
	v_cmp_gt_u64_e32 vcc, s[22:23], v[12:13]
	v_mov_b32_e32 v17, s19
	s_and_saveexec_b64 s[28:29], vcc
	s_cbranch_execz .LBB15_38
; %bb.37:                               ;   in Loop: Header=BB15_33 Depth=2
	v_lshl_add_u64 v[18:19], v[8:9], 0, v[12:13]
	global_load_ubyte v17, v[18:19], off
.LBB15_38:                              ;   in Loop: Header=BB15_33 Depth=2
	s_or_b64 exec, exec, s[28:29]
	s_waitcnt vmcnt(0)
	ds_write_b8 v23, v17
	s_and_b64 exec, exec, s[0:1]
	s_cbranch_execz .LBB15_40
; %bb.39:                               ;   in Loop: Header=BB15_33 Depth=2
	ds_read_u8 v17, v20
	s_waitcnt lgkmcnt(0)
	v_mul_lo_u16_e32 v16, v17, v16
	ds_write_b8 v20, v16
.LBB15_40:                              ;   in Loop: Header=BB15_33 Depth=2
	s_or_b64 exec, exec, s[26:27]
	s_mov_b64 s[26:27], 0
	v_mov_b32_e32 v25, 0
	s_waitcnt lgkmcnt(0)
	s_barrier
	s_branch .LBB15_43
.LBB15_41:                              ;   in Loop: Header=BB15_43 Depth=3
	s_or_b64 exec, exec, s[30:31]
	v_lshrrev_b32_e32 v17, v25, v0
	v_lshl_or_b32 v16, v17, v24, v16
	v_add_u32_e32 v16, v20, v16
	v_add_u32_e32 v17, v16, v18
	v_add_u32_e32 v16, -1, v16
	ds_read_u8 v18, v17
	ds_read_u8 v16, v16
	s_waitcnt lgkmcnt(0)
	v_mul_lo_u16_e32 v16, v16, v18
	ds_write_b8 v17, v16
.LBB15_42:                              ;   in Loop: Header=BB15_43 Depth=3
	s_or_b64 exec, exec, s[28:29]
	v_cmp_eq_u32_e32 vcc, s18, v24
	s_or_b64 s[26:27], vcc, s[26:27]
	v_mov_b32_e32 v25, v24
	s_waitcnt lgkmcnt(0)
	s_barrier
	s_andn2_b64 exec, exec, s[26:27]
	s_cbranch_execz .LBB15_48
.LBB15_43:                              ;   Parent Loop BB15_30 Depth=1
                                        ;     Parent Loop BB15_33 Depth=2
                                        ; =>    This Inner Loop Header: Depth=3
	v_add_u32_e32 v24, 1, v25
	s_and_saveexec_b64 s[28:29], s[6:7]
	s_xor_b64 s[28:29], exec, s[28:29]
; %bb.44:                               ;   in Loop: Header=BB15_43 Depth=3
	v_add_u32_e32 v24, 1, v25
                                        ; implicit-def: $vgpr25
; %bb.45:                               ;   in Loop: Header=BB15_43 Depth=3
	s_andn2_saveexec_b64 s[28:29], s[28:29]
	s_cbranch_execz .LBB15_42
; %bb.46:                               ;   in Loop: Header=BB15_43 Depth=3
	v_lshlrev_b32_e64 v16, v25, 1
	v_ashrrev_i32_e32 v17, 31, v16
	v_cmp_ge_u64_e32 vcc, v[0:1], v[16:17]
	v_mov_b64_e32 v[18:19], v[0:1]
	s_and_saveexec_b64 s[30:31], vcc
	s_cbranch_execz .LBB15_41
; %bb.47:                               ;   in Loop: Header=BB15_43 Depth=3
	v_cvt_f32_u32_e32 v17, v16
	v_sub_u32_e32 v18, 0, v16
	v_rcp_iflag_f32_e32 v17, v17
	s_nop 0
	v_mul_f32_e32 v17, 0x4f7ffffe, v17
	v_cvt_u32_f32_e32 v17, v17
	v_mul_lo_u32 v18, v18, v17
	v_mul_hi_u32 v18, v17, v18
	v_add_u32_e32 v17, v17, v18
	v_mul_hi_u32 v17, v0, v17
	v_mul_lo_u32 v17, v17, v16
	v_sub_u32_e32 v17, v0, v17
	v_sub_u32_e32 v18, v17, v16
	v_cmp_ge_u32_e32 vcc, v17, v16
	s_nop 1
	v_cndmask_b32_e32 v17, v17, v18, vcc
	v_sub_u32_e32 v18, v17, v16
	v_cmp_ge_u32_e32 vcc, v17, v16
	s_nop 1
	v_cndmask_b32_e32 v18, v17, v18, vcc
	s_branch .LBB15_41
.LBB15_48:                              ;   in Loop: Header=BB15_33 Depth=2
	s_or_b64 exec, exec, s[26:27]
	s_and_saveexec_b64 s[26:27], s[4:5]
	s_cbranch_execz .LBB15_32
; %bb.49:                               ;   in Loop: Header=BB15_33 Depth=2
	v_cmp_gt_u64_e32 vcc, s[22:23], v[14:15]
	s_and_saveexec_b64 s[28:29], vcc
	s_cbranch_execz .LBB15_51
; %bb.50:                               ;   in Loop: Header=BB15_33 Depth=2
	ds_read_u8 v16, v22
	v_lshl_add_u64 v[14:15], v[10:11], 0, v[14:15]
	s_waitcnt lgkmcnt(0)
	global_store_byte v[14:15], v16, off
.LBB15_51:                              ;   in Loop: Header=BB15_33 Depth=2
	s_or_b64 exec, exec, s[28:29]
	v_cmp_gt_u64_e32 vcc, s[22:23], v[12:13]
	s_and_b64 exec, exec, vcc
	s_cbranch_execz .LBB15_32
; %bb.52:                               ;   in Loop: Header=BB15_33 Depth=2
	ds_read_u8 v14, v23
	v_lshl_add_u64 v[12:13], v[10:11], 0, v[12:13]
	s_waitcnt lgkmcnt(0)
	global_store_byte v[12:13], v14, off
	s_branch .LBB15_32
.LBB15_53:
	s_endpgm
	.section	.rodata,"a",@progbits
	.p2align	6, 0x0
	.amdhsa_kernel _ZN2at6native32tensor_kernel_scan_innermost_dimIaSt10multipliesIaEEEvPT_PKS4_jjjS4_T0_
		.amdhsa_group_segment_fixed_size 0
		.amdhsa_private_segment_fixed_size 0
		.amdhsa_kernarg_size 288
		.amdhsa_user_sgpr_count 2
		.amdhsa_user_sgpr_dispatch_ptr 0
		.amdhsa_user_sgpr_queue_ptr 0
		.amdhsa_user_sgpr_kernarg_segment_ptr 1
		.amdhsa_user_sgpr_dispatch_id 0
		.amdhsa_user_sgpr_kernarg_preload_length 0
		.amdhsa_user_sgpr_kernarg_preload_offset 0
		.amdhsa_user_sgpr_private_segment_size 0
		.amdhsa_uses_dynamic_stack 0
		.amdhsa_enable_private_segment 0
		.amdhsa_system_sgpr_workgroup_id_x 1
		.amdhsa_system_sgpr_workgroup_id_y 0
		.amdhsa_system_sgpr_workgroup_id_z 0
		.amdhsa_system_sgpr_workgroup_info 0
		.amdhsa_system_vgpr_workitem_id 1
		.amdhsa_next_free_vgpr 26
		.amdhsa_next_free_sgpr 34
		.amdhsa_accum_offset 28
		.amdhsa_reserve_vcc 1
		.amdhsa_float_round_mode_32 0
		.amdhsa_float_round_mode_16_64 0
		.amdhsa_float_denorm_mode_32 3
		.amdhsa_float_denorm_mode_16_64 3
		.amdhsa_dx10_clamp 1
		.amdhsa_ieee_mode 1
		.amdhsa_fp16_overflow 0
		.amdhsa_tg_split 0
		.amdhsa_exception_fp_ieee_invalid_op 0
		.amdhsa_exception_fp_denorm_src 0
		.amdhsa_exception_fp_ieee_div_zero 0
		.amdhsa_exception_fp_ieee_overflow 0
		.amdhsa_exception_fp_ieee_underflow 0
		.amdhsa_exception_fp_ieee_inexact 0
		.amdhsa_exception_int_div_zero 0
	.end_amdhsa_kernel
	.section	.text._ZN2at6native32tensor_kernel_scan_innermost_dimIaSt10multipliesIaEEEvPT_PKS4_jjjS4_T0_,"axG",@progbits,_ZN2at6native32tensor_kernel_scan_innermost_dimIaSt10multipliesIaEEEvPT_PKS4_jjjS4_T0_,comdat
.Lfunc_end15:
	.size	_ZN2at6native32tensor_kernel_scan_innermost_dimIaSt10multipliesIaEEEvPT_PKS4_jjjS4_T0_, .Lfunc_end15-_ZN2at6native32tensor_kernel_scan_innermost_dimIaSt10multipliesIaEEEvPT_PKS4_jjjS4_T0_
                                        ; -- End function
	.section	.AMDGPU.csdata,"",@progbits
; Kernel info:
; codeLenInByte = 1572
; NumSgprs: 40
; NumVgprs: 26
; NumAgprs: 0
; TotalNumVgprs: 26
; ScratchSize: 0
; MemoryBound: 0
; FloatMode: 240
; IeeeMode: 1
; LDSByteSize: 0 bytes/workgroup (compile time only)
; SGPRBlocks: 4
; VGPRBlocks: 3
; NumSGPRsForWavesPerEU: 40
; NumVGPRsForWavesPerEU: 26
; AccumOffset: 28
; Occupancy: 8
; WaveLimiterHint : 0
; COMPUTE_PGM_RSRC2:SCRATCH_EN: 0
; COMPUTE_PGM_RSRC2:USER_SGPR: 2
; COMPUTE_PGM_RSRC2:TRAP_HANDLER: 0
; COMPUTE_PGM_RSRC2:TGID_X_EN: 1
; COMPUTE_PGM_RSRC2:TGID_Y_EN: 0
; COMPUTE_PGM_RSRC2:TGID_Z_EN: 0
; COMPUTE_PGM_RSRC2:TIDIG_COMP_CNT: 1
; COMPUTE_PGM_RSRC3_GFX90A:ACCUM_OFFSET: 6
; COMPUTE_PGM_RSRC3_GFX90A:TG_SPLIT: 0
	.section	.text._ZN2at6native28tensor_kernel_scan_outer_dimIajSt10multipliesIaEEEvPT_PKS4_jjjS4_T1_,"axG",@progbits,_ZN2at6native28tensor_kernel_scan_outer_dimIajSt10multipliesIaEEEvPT_PKS4_jjjS4_T1_,comdat
	.protected	_ZN2at6native28tensor_kernel_scan_outer_dimIajSt10multipliesIaEEEvPT_PKS4_jjjS4_T1_ ; -- Begin function _ZN2at6native28tensor_kernel_scan_outer_dimIajSt10multipliesIaEEEvPT_PKS4_jjjS4_T1_
	.globl	_ZN2at6native28tensor_kernel_scan_outer_dimIajSt10multipliesIaEEEvPT_PKS4_jjjS4_T1_
	.p2align	8
	.type	_ZN2at6native28tensor_kernel_scan_outer_dimIajSt10multipliesIaEEEvPT_PKS4_jjjS4_T1_,@function
_ZN2at6native28tensor_kernel_scan_outer_dimIajSt10multipliesIaEEEvPT_PKS4_jjjS4_T1_: ; @_ZN2at6native28tensor_kernel_scan_outer_dimIajSt10multipliesIaEEEvPT_PKS4_jjjS4_T1_
; %bb.0:
	s_load_dwordx4 s[8:11], s[0:1], 0x10
	s_waitcnt lgkmcnt(0)
	s_cmp_ge_u32 s2, s8
	s_cbranch_scc1 .LBB16_9
; %bb.1:
	s_load_dword s4, s[0:1], 0x2c
	s_load_dwordx4 s[12:15], s[0:1], 0x0
	s_load_dword s24, s[0:1], 0x20
	s_add_u32 s6, s0, 32
	s_addc_u32 s7, s1, 0
	s_waitcnt lgkmcnt(0)
	s_and_b32 s25, s4, 0xffff
	s_mul_i32 s3, s3, s25
	s_cmp_lg_u32 s10, 0
	v_add_u32_e32 v4, s3, v0
	s_mul_i32 s3, s2, s10
	s_cselect_b64 s[4:5], -1, 0
	s_mov_b32 s17, 0
	s_mul_i32 s16, s3, s9
	s_mul_i32 s3, s24, s10
	v_cndmask_b32_e64 v0, 0, 1, s[4:5]
	v_cmp_gt_u32_e64 s[0:1], s9, v4
	s_mov_b32 s18, s9
	s_mov_b32 s19, s17
	s_mul_i32 s3, s3, s9
	v_cmp_ne_u32_e64 s[4:5], 1, v0
	v_mov_b32_e32 v1, 0
	s_branch .LBB16_3
.LBB16_2:                               ;   in Loop: Header=BB16_3 Depth=1
	s_or_b64 exec, exec, s[20:21]
	s_add_i32 s2, s24, s2
	s_add_i32 s16, s16, s3
	s_cmp_ge_u32 s2, s8
	s_cbranch_scc1 .LBB16_9
.LBB16_3:                               ; =>This Loop Header: Depth=1
                                        ;     Child Loop BB16_6 Depth 2
                                        ;       Child Loop BB16_8 Depth 3
	s_and_saveexec_b64 s[20:21], s[0:1]
	s_cbranch_execz .LBB16_2
; %bb.4:                                ;   in Loop: Header=BB16_3 Depth=1
	s_load_dword s26, s[6:7], 0x4
	s_mov_b64 s[22:23], 0
	v_mov_b32_e32 v0, v4
	s_waitcnt lgkmcnt(0)
	s_mul_i32 s26, s26, s25
	s_branch .LBB16_6
.LBB16_5:                               ;   in Loop: Header=BB16_6 Depth=2
	v_add_u32_e32 v0, s26, v0
	v_cmp_le_u32_e32 vcc, s9, v0
	s_or_b64 s[22:23], vcc, s[22:23]
	s_andn2_b64 exec, exec, s[22:23]
	s_cbranch_execz .LBB16_2
.LBB16_6:                               ;   Parent Loop BB16_3 Depth=1
                                        ; =>  This Loop Header: Depth=2
                                        ;       Child Loop BB16_8 Depth 3
	s_and_b64 vcc, exec, s[4:5]
	s_cbranch_vccnz .LBB16_5
; %bb.7:                                ;   in Loop: Header=BB16_6 Depth=2
	v_lshl_add_u64 v[2:3], s[16:17], 0, v[0:1]
	v_mov_b32_e32 v5, s11
	s_mov_b32 s27, s10
.LBB16_8:                               ;   Parent Loop BB16_3 Depth=1
                                        ;     Parent Loop BB16_6 Depth=2
                                        ; =>    This Inner Loop Header: Depth=3
	v_lshl_add_u64 v[6:7], s[14:15], 0, v[2:3]
	global_load_ubyte v8, v[6:7], off
	s_add_i32 s27, s27, -1
	v_lshl_add_u64 v[6:7], s[12:13], 0, v[2:3]
	v_lshl_add_u64 v[2:3], v[2:3], 0, s[18:19]
	s_cmp_eq_u32 s27, 0
	s_waitcnt vmcnt(0)
	v_mul_lo_u16_e32 v5, v8, v5
	global_store_byte v[6:7], v5, off
	s_cbranch_scc0 .LBB16_8
	s_branch .LBB16_5
.LBB16_9:
	s_endpgm
	.section	.rodata,"a",@progbits
	.p2align	6, 0x0
	.amdhsa_kernel _ZN2at6native28tensor_kernel_scan_outer_dimIajSt10multipliesIaEEEvPT_PKS4_jjjS4_T1_
		.amdhsa_group_segment_fixed_size 0
		.amdhsa_private_segment_fixed_size 0
		.amdhsa_kernarg_size 288
		.amdhsa_user_sgpr_count 2
		.amdhsa_user_sgpr_dispatch_ptr 0
		.amdhsa_user_sgpr_queue_ptr 0
		.amdhsa_user_sgpr_kernarg_segment_ptr 1
		.amdhsa_user_sgpr_dispatch_id 0
		.amdhsa_user_sgpr_kernarg_preload_length 0
		.amdhsa_user_sgpr_kernarg_preload_offset 0
		.amdhsa_user_sgpr_private_segment_size 0
		.amdhsa_uses_dynamic_stack 0
		.amdhsa_enable_private_segment 0
		.amdhsa_system_sgpr_workgroup_id_x 1
		.amdhsa_system_sgpr_workgroup_id_y 1
		.amdhsa_system_sgpr_workgroup_id_z 0
		.amdhsa_system_sgpr_workgroup_info 0
		.amdhsa_system_vgpr_workitem_id 0
		.amdhsa_next_free_vgpr 9
		.amdhsa_next_free_sgpr 28
		.amdhsa_accum_offset 12
		.amdhsa_reserve_vcc 1
		.amdhsa_float_round_mode_32 0
		.amdhsa_float_round_mode_16_64 0
		.amdhsa_float_denorm_mode_32 3
		.amdhsa_float_denorm_mode_16_64 3
		.amdhsa_dx10_clamp 1
		.amdhsa_ieee_mode 1
		.amdhsa_fp16_overflow 0
		.amdhsa_tg_split 0
		.amdhsa_exception_fp_ieee_invalid_op 0
		.amdhsa_exception_fp_denorm_src 0
		.amdhsa_exception_fp_ieee_div_zero 0
		.amdhsa_exception_fp_ieee_overflow 0
		.amdhsa_exception_fp_ieee_underflow 0
		.amdhsa_exception_fp_ieee_inexact 0
		.amdhsa_exception_int_div_zero 0
	.end_amdhsa_kernel
	.section	.text._ZN2at6native28tensor_kernel_scan_outer_dimIajSt10multipliesIaEEEvPT_PKS4_jjjS4_T1_,"axG",@progbits,_ZN2at6native28tensor_kernel_scan_outer_dimIajSt10multipliesIaEEEvPT_PKS4_jjjS4_T1_,comdat
.Lfunc_end16:
	.size	_ZN2at6native28tensor_kernel_scan_outer_dimIajSt10multipliesIaEEEvPT_PKS4_jjjS4_T1_, .Lfunc_end16-_ZN2at6native28tensor_kernel_scan_outer_dimIajSt10multipliesIaEEEvPT_PKS4_jjjS4_T1_
                                        ; -- End function
	.section	.AMDGPU.csdata,"",@progbits
; Kernel info:
; codeLenInByte = 308
; NumSgprs: 34
; NumVgprs: 9
; NumAgprs: 0
; TotalNumVgprs: 9
; ScratchSize: 0
; MemoryBound: 0
; FloatMode: 240
; IeeeMode: 1
; LDSByteSize: 0 bytes/workgroup (compile time only)
; SGPRBlocks: 4
; VGPRBlocks: 1
; NumSGPRsForWavesPerEU: 34
; NumVGPRsForWavesPerEU: 9
; AccumOffset: 12
; Occupancy: 8
; WaveLimiterHint : 0
; COMPUTE_PGM_RSRC2:SCRATCH_EN: 0
; COMPUTE_PGM_RSRC2:USER_SGPR: 2
; COMPUTE_PGM_RSRC2:TRAP_HANDLER: 0
; COMPUTE_PGM_RSRC2:TGID_X_EN: 1
; COMPUTE_PGM_RSRC2:TGID_Y_EN: 1
; COMPUTE_PGM_RSRC2:TGID_Z_EN: 0
; COMPUTE_PGM_RSRC2:TIDIG_COMP_CNT: 0
; COMPUTE_PGM_RSRC3_GFX90A:ACCUM_OFFSET: 2
; COMPUTE_PGM_RSRC3_GFX90A:TG_SPLIT: 0
	.section	.text._ZN2at6native28tensor_kernel_scan_outer_dimIamSt10multipliesIaEEEvPT_PKS4_jjjS4_T1_,"axG",@progbits,_ZN2at6native28tensor_kernel_scan_outer_dimIamSt10multipliesIaEEEvPT_PKS4_jjjS4_T1_,comdat
	.protected	_ZN2at6native28tensor_kernel_scan_outer_dimIamSt10multipliesIaEEEvPT_PKS4_jjjS4_T1_ ; -- Begin function _ZN2at6native28tensor_kernel_scan_outer_dimIamSt10multipliesIaEEEvPT_PKS4_jjjS4_T1_
	.globl	_ZN2at6native28tensor_kernel_scan_outer_dimIamSt10multipliesIaEEEvPT_PKS4_jjjS4_T1_
	.p2align	8
	.type	_ZN2at6native28tensor_kernel_scan_outer_dimIamSt10multipliesIaEEEvPT_PKS4_jjjS4_T1_,@function
_ZN2at6native28tensor_kernel_scan_outer_dimIamSt10multipliesIaEEEvPT_PKS4_jjjS4_T1_: ; @_ZN2at6native28tensor_kernel_scan_outer_dimIamSt10multipliesIaEEEvPT_PKS4_jjjS4_T1_
; %bb.0:
	s_load_dwordx4 s[8:11], s[0:1], 0x10
	s_waitcnt lgkmcnt(0)
	s_cmp_ge_u32 s2, s8
	s_cbranch_scc1 .LBB17_9
; %bb.1:
	s_load_dword s4, s[0:1], 0x2c
	s_load_dwordx4 s[12:15], s[0:1], 0x0
	s_load_dword s24, s[0:1], 0x20
	s_add_u32 s6, s0, 32
	s_addc_u32 s7, s1, 0
	s_waitcnt lgkmcnt(0)
	s_and_b32 s25, s4, 0xffff
	s_cmp_lg_u32 s10, 0
	s_mul_i32 s3, s3, s25
	s_cselect_b64 s[4:5], -1, 0
	v_add_u32_e32 v4, s3, v0
	v_cndmask_b32_e64 v0, 0, 1, s[4:5]
	v_cmp_gt_u32_e64 s[0:1], s9, v4
	s_mov_b32 s17, 0
	s_mov_b32 s16, s9
	s_mul_hi_u32 s3, s10, s9
	s_mul_i32 s26, s10, s9
	v_cmp_ne_u32_e64 s[4:5], 1, v0
	v_mov_b32_e32 v1, 0
	s_branch .LBB17_3
.LBB17_2:                               ;   in Loop: Header=BB17_3 Depth=1
	s_or_b64 exec, exec, s[18:19]
	s_add_i32 s2, s2, s24
	s_cmp_ge_u32 s2, s8
	s_cbranch_scc1 .LBB17_9
.LBB17_3:                               ; =>This Loop Header: Depth=1
                                        ;     Child Loop BB17_6 Depth 2
                                        ;       Child Loop BB17_8 Depth 3
	s_and_saveexec_b64 s[18:19], s[0:1]
	s_cbranch_execz .LBB17_2
; %bb.4:                                ;   in Loop: Header=BB17_3 Depth=1
	s_load_dword s27, s[6:7], 0x4
	s_mul_i32 s21, s3, s2
	s_mul_hi_u32 s22, s26, s2
	s_mul_i32 s20, s26, s2
	s_add_i32 s21, s22, s21
	s_waitcnt lgkmcnt(0)
	s_mul_i32 s27, s27, s25
	s_mov_b64 s[22:23], 0
	v_mov_b32_e32 v0, v4
	s_branch .LBB17_6
.LBB17_5:                               ;   in Loop: Header=BB17_6 Depth=2
	v_add_u32_e32 v0, s27, v0
	v_cmp_le_u32_e32 vcc, s9, v0
	s_or_b64 s[22:23], vcc, s[22:23]
	s_andn2_b64 exec, exec, s[22:23]
	s_cbranch_execz .LBB17_2
.LBB17_6:                               ;   Parent Loop BB17_3 Depth=1
                                        ; =>  This Loop Header: Depth=2
                                        ;       Child Loop BB17_8 Depth 3
	s_and_b64 vcc, exec, s[4:5]
	s_cbranch_vccnz .LBB17_5
; %bb.7:                                ;   in Loop: Header=BB17_6 Depth=2
	v_lshl_add_u64 v[2:3], s[20:21], 0, v[0:1]
	v_mov_b32_e32 v5, s11
	s_mov_b32 s28, s10
.LBB17_8:                               ;   Parent Loop BB17_3 Depth=1
                                        ;     Parent Loop BB17_6 Depth=2
                                        ; =>    This Inner Loop Header: Depth=3
	v_lshl_add_u64 v[6:7], s[14:15], 0, v[2:3]
	global_load_ubyte v8, v[6:7], off
	s_add_i32 s28, s28, -1
	v_lshl_add_u64 v[6:7], s[12:13], 0, v[2:3]
	v_lshl_add_u64 v[2:3], v[2:3], 0, s[16:17]
	s_cmp_eq_u32 s28, 0
	s_waitcnt vmcnt(0)
	v_mul_lo_u16_e32 v5, v8, v5
	global_store_byte v[6:7], v5, off
	s_cbranch_scc0 .LBB17_8
	s_branch .LBB17_5
.LBB17_9:
	s_endpgm
	.section	.rodata,"a",@progbits
	.p2align	6, 0x0
	.amdhsa_kernel _ZN2at6native28tensor_kernel_scan_outer_dimIamSt10multipliesIaEEEvPT_PKS4_jjjS4_T1_
		.amdhsa_group_segment_fixed_size 0
		.amdhsa_private_segment_fixed_size 0
		.amdhsa_kernarg_size 288
		.amdhsa_user_sgpr_count 2
		.amdhsa_user_sgpr_dispatch_ptr 0
		.amdhsa_user_sgpr_queue_ptr 0
		.amdhsa_user_sgpr_kernarg_segment_ptr 1
		.amdhsa_user_sgpr_dispatch_id 0
		.amdhsa_user_sgpr_kernarg_preload_length 0
		.amdhsa_user_sgpr_kernarg_preload_offset 0
		.amdhsa_user_sgpr_private_segment_size 0
		.amdhsa_uses_dynamic_stack 0
		.amdhsa_enable_private_segment 0
		.amdhsa_system_sgpr_workgroup_id_x 1
		.amdhsa_system_sgpr_workgroup_id_y 1
		.amdhsa_system_sgpr_workgroup_id_z 0
		.amdhsa_system_sgpr_workgroup_info 0
		.amdhsa_system_vgpr_workitem_id 0
		.amdhsa_next_free_vgpr 9
		.amdhsa_next_free_sgpr 29
		.amdhsa_accum_offset 12
		.amdhsa_reserve_vcc 1
		.amdhsa_float_round_mode_32 0
		.amdhsa_float_round_mode_16_64 0
		.amdhsa_float_denorm_mode_32 3
		.amdhsa_float_denorm_mode_16_64 3
		.amdhsa_dx10_clamp 1
		.amdhsa_ieee_mode 1
		.amdhsa_fp16_overflow 0
		.amdhsa_tg_split 0
		.amdhsa_exception_fp_ieee_invalid_op 0
		.amdhsa_exception_fp_denorm_src 0
		.amdhsa_exception_fp_ieee_div_zero 0
		.amdhsa_exception_fp_ieee_overflow 0
		.amdhsa_exception_fp_ieee_underflow 0
		.amdhsa_exception_fp_ieee_inexact 0
		.amdhsa_exception_int_div_zero 0
	.end_amdhsa_kernel
	.section	.text._ZN2at6native28tensor_kernel_scan_outer_dimIamSt10multipliesIaEEEvPT_PKS4_jjjS4_T1_,"axG",@progbits,_ZN2at6native28tensor_kernel_scan_outer_dimIamSt10multipliesIaEEEvPT_PKS4_jjjS4_T1_,comdat
.Lfunc_end17:
	.size	_ZN2at6native28tensor_kernel_scan_outer_dimIamSt10multipliesIaEEEvPT_PKS4_jjjS4_T1_, .Lfunc_end17-_ZN2at6native28tensor_kernel_scan_outer_dimIamSt10multipliesIaEEEvPT_PKS4_jjjS4_T1_
                                        ; -- End function
	.section	.AMDGPU.csdata,"",@progbits
; Kernel info:
; codeLenInByte = 308
; NumSgprs: 35
; NumVgprs: 9
; NumAgprs: 0
; TotalNumVgprs: 9
; ScratchSize: 0
; MemoryBound: 0
; FloatMode: 240
; IeeeMode: 1
; LDSByteSize: 0 bytes/workgroup (compile time only)
; SGPRBlocks: 4
; VGPRBlocks: 1
; NumSGPRsForWavesPerEU: 35
; NumVGPRsForWavesPerEU: 9
; AccumOffset: 12
; Occupancy: 8
; WaveLimiterHint : 0
; COMPUTE_PGM_RSRC2:SCRATCH_EN: 0
; COMPUTE_PGM_RSRC2:USER_SGPR: 2
; COMPUTE_PGM_RSRC2:TRAP_HANDLER: 0
; COMPUTE_PGM_RSRC2:TGID_X_EN: 1
; COMPUTE_PGM_RSRC2:TGID_Y_EN: 1
; COMPUTE_PGM_RSRC2:TGID_Z_EN: 0
; COMPUTE_PGM_RSRC2:TIDIG_COMP_CNT: 0
; COMPUTE_PGM_RSRC3_GFX90A:ACCUM_OFFSET: 2
; COMPUTE_PGM_RSRC3_GFX90A:TG_SPLIT: 0
	.section	.text._ZN7rocprim17ROCPRIM_304000_NS6detail31init_lookback_scan_state_kernelINS1_19lookback_scan_stateIiLb1ELb1EEEEEvT_jjPNS5_10value_typeE,"axG",@progbits,_ZN7rocprim17ROCPRIM_304000_NS6detail31init_lookback_scan_state_kernelINS1_19lookback_scan_stateIiLb1ELb1EEEEEvT_jjPNS5_10value_typeE,comdat
	.protected	_ZN7rocprim17ROCPRIM_304000_NS6detail31init_lookback_scan_state_kernelINS1_19lookback_scan_stateIiLb1ELb1EEEEEvT_jjPNS5_10value_typeE ; -- Begin function _ZN7rocprim17ROCPRIM_304000_NS6detail31init_lookback_scan_state_kernelINS1_19lookback_scan_stateIiLb1ELb1EEEEEvT_jjPNS5_10value_typeE
	.globl	_ZN7rocprim17ROCPRIM_304000_NS6detail31init_lookback_scan_state_kernelINS1_19lookback_scan_stateIiLb1ELb1EEEEEvT_jjPNS5_10value_typeE
	.p2align	8
	.type	_ZN7rocprim17ROCPRIM_304000_NS6detail31init_lookback_scan_state_kernelINS1_19lookback_scan_stateIiLb1ELb1EEEEEvT_jjPNS5_10value_typeE,@function
_ZN7rocprim17ROCPRIM_304000_NS6detail31init_lookback_scan_state_kernelINS1_19lookback_scan_stateIiLb1ELb1EEEEEvT_jjPNS5_10value_typeE: ; @_ZN7rocprim17ROCPRIM_304000_NS6detail31init_lookback_scan_state_kernelINS1_19lookback_scan_stateIiLb1ELb1EEEEEvT_jjPNS5_10value_typeE
; %bb.0:
	s_load_dword s3, s[0:1], 0x24
	s_load_dwordx2 s[8:9], s[0:1], 0x10
	s_load_dwordx4 s[4:7], s[0:1], 0x0
	s_waitcnt lgkmcnt(0)
	s_and_b32 s0, s3, 0xffff
	s_mul_i32 s2, s2, s0
	s_cmp_eq_u64 s[8:9], 0
	v_add_u32_e32 v0, s2, v0
	s_cbranch_scc1 .LBB18_9
; %bb.1:
	s_cmp_lt_u32 s7, s6
	s_cselect_b32 s0, s7, 0
	s_mov_b32 s3, 0
	v_cmp_eq_u32_e32 vcc, s0, v0
	s_and_saveexec_b64 s[0:1], vcc
	s_cbranch_execz .LBB18_8
; %bb.2:
	s_add_i32 s2, s7, 64
	s_lshl_b64 s[2:3], s[2:3], 3
	s_add_u32 s2, s4, s2
	s_addc_u32 s3, s5, s3
	v_mov_b32_e32 v2, 0
	global_load_dwordx2 v[4:5], v2, s[2:3] sc1
	s_waitcnt vmcnt(0)
	v_and_b32_e32 v3, 0xff, v5
	v_cmp_ne_u64_e32 vcc, 0, v[2:3]
	s_cbranch_vccnz .LBB18_7
; %bb.3:
	s_mov_b32 s7, 1
.LBB18_4:                               ; =>This Loop Header: Depth=1
                                        ;     Child Loop BB18_5 Depth 2
	s_max_u32 s10, s7, 1
.LBB18_5:                               ;   Parent Loop BB18_4 Depth=1
                                        ; =>  This Inner Loop Header: Depth=2
	s_add_i32 s10, s10, -1
	s_cmp_eq_u32 s10, 0
	s_sleep 1
	s_cbranch_scc0 .LBB18_5
; %bb.6:                                ;   in Loop: Header=BB18_4 Depth=1
	global_load_dwordx2 v[4:5], v2, s[2:3] sc1
	s_cmp_lt_u32 s7, 32
	s_cselect_b64 s[10:11], -1, 0
	s_cmp_lg_u64 s[10:11], 0
	s_addc_u32 s7, s7, 0
	s_waitcnt vmcnt(0)
	v_and_b32_e32 v3, 0xff, v5
	v_cmp_ne_u64_e32 vcc, 0, v[2:3]
	s_cbranch_vccz .LBB18_4
.LBB18_7:
	v_mov_b32_e32 v1, 0
	global_store_dword v1, v4, s[8:9]
.LBB18_8:
	s_or_b64 exec, exec, s[0:1]
.LBB18_9:
	v_cmp_gt_u32_e32 vcc, s6, v0
	s_and_saveexec_b64 s[0:1], vcc
	s_cbranch_execnz .LBB18_12
; %bb.10:
	s_or_b64 exec, exec, s[0:1]
	v_cmp_gt_u32_e32 vcc, 64, v0
	s_and_saveexec_b64 s[0:1], vcc
	s_cbranch_execnz .LBB18_13
.LBB18_11:
	s_endpgm
.LBB18_12:
	v_add_u32_e32 v2, 64, v0
	v_mov_b32_e32 v3, 0
	v_lshl_add_u64 v[4:5], v[2:3], 3, s[4:5]
	v_mov_b32_e32 v2, v3
	global_store_dwordx2 v[4:5], v[2:3], off
	s_or_b64 exec, exec, s[0:1]
	v_cmp_gt_u32_e32 vcc, 64, v0
	s_and_saveexec_b64 s[0:1], vcc
	s_cbranch_execz .LBB18_11
.LBB18_13:
	v_mov_b32_e32 v1, 0
	v_lshl_add_u64 v[2:3], v[0:1], 3, s[4:5]
	v_mov_b32_e32 v5, 0xff
	v_mov_b32_e32 v4, v1
	global_store_dwordx2 v[2:3], v[4:5], off
	s_endpgm
	.section	.rodata,"a",@progbits
	.p2align	6, 0x0
	.amdhsa_kernel _ZN7rocprim17ROCPRIM_304000_NS6detail31init_lookback_scan_state_kernelINS1_19lookback_scan_stateIiLb1ELb1EEEEEvT_jjPNS5_10value_typeE
		.amdhsa_group_segment_fixed_size 0
		.amdhsa_private_segment_fixed_size 0
		.amdhsa_kernarg_size 280
		.amdhsa_user_sgpr_count 2
		.amdhsa_user_sgpr_dispatch_ptr 0
		.amdhsa_user_sgpr_queue_ptr 0
		.amdhsa_user_sgpr_kernarg_segment_ptr 1
		.amdhsa_user_sgpr_dispatch_id 0
		.amdhsa_user_sgpr_kernarg_preload_length 0
		.amdhsa_user_sgpr_kernarg_preload_offset 0
		.amdhsa_user_sgpr_private_segment_size 0
		.amdhsa_uses_dynamic_stack 0
		.amdhsa_enable_private_segment 0
		.amdhsa_system_sgpr_workgroup_id_x 1
		.amdhsa_system_sgpr_workgroup_id_y 0
		.amdhsa_system_sgpr_workgroup_id_z 0
		.amdhsa_system_sgpr_workgroup_info 0
		.amdhsa_system_vgpr_workitem_id 0
		.amdhsa_next_free_vgpr 6
		.amdhsa_next_free_sgpr 12
		.amdhsa_accum_offset 8
		.amdhsa_reserve_vcc 1
		.amdhsa_float_round_mode_32 0
		.amdhsa_float_round_mode_16_64 0
		.amdhsa_float_denorm_mode_32 3
		.amdhsa_float_denorm_mode_16_64 3
		.amdhsa_dx10_clamp 1
		.amdhsa_ieee_mode 1
		.amdhsa_fp16_overflow 0
		.amdhsa_tg_split 0
		.amdhsa_exception_fp_ieee_invalid_op 0
		.amdhsa_exception_fp_denorm_src 0
		.amdhsa_exception_fp_ieee_div_zero 0
		.amdhsa_exception_fp_ieee_overflow 0
		.amdhsa_exception_fp_ieee_underflow 0
		.amdhsa_exception_fp_ieee_inexact 0
		.amdhsa_exception_int_div_zero 0
	.end_amdhsa_kernel
	.section	.text._ZN7rocprim17ROCPRIM_304000_NS6detail31init_lookback_scan_state_kernelINS1_19lookback_scan_stateIiLb1ELb1EEEEEvT_jjPNS5_10value_typeE,"axG",@progbits,_ZN7rocprim17ROCPRIM_304000_NS6detail31init_lookback_scan_state_kernelINS1_19lookback_scan_stateIiLb1ELb1EEEEEvT_jjPNS5_10value_typeE,comdat
.Lfunc_end18:
	.size	_ZN7rocprim17ROCPRIM_304000_NS6detail31init_lookback_scan_state_kernelINS1_19lookback_scan_stateIiLb1ELb1EEEEEvT_jjPNS5_10value_typeE, .Lfunc_end18-_ZN7rocprim17ROCPRIM_304000_NS6detail31init_lookback_scan_state_kernelINS1_19lookback_scan_stateIiLb1ELb1EEEEEvT_jjPNS5_10value_typeE
                                        ; -- End function
	.section	.AMDGPU.csdata,"",@progbits
; Kernel info:
; codeLenInByte = 320
; NumSgprs: 18
; NumVgprs: 6
; NumAgprs: 0
; TotalNumVgprs: 6
; ScratchSize: 0
; MemoryBound: 0
; FloatMode: 240
; IeeeMode: 1
; LDSByteSize: 0 bytes/workgroup (compile time only)
; SGPRBlocks: 2
; VGPRBlocks: 0
; NumSGPRsForWavesPerEU: 18
; NumVGPRsForWavesPerEU: 6
; AccumOffset: 8
; Occupancy: 8
; WaveLimiterHint : 0
; COMPUTE_PGM_RSRC2:SCRATCH_EN: 0
; COMPUTE_PGM_RSRC2:USER_SGPR: 2
; COMPUTE_PGM_RSRC2:TRAP_HANDLER: 0
; COMPUTE_PGM_RSRC2:TGID_X_EN: 1
; COMPUTE_PGM_RSRC2:TGID_Y_EN: 0
; COMPUTE_PGM_RSRC2:TGID_Z_EN: 0
; COMPUTE_PGM_RSRC2:TIDIG_COMP_CNT: 0
; COMPUTE_PGM_RSRC3_GFX90A:ACCUM_OFFSET: 1
; COMPUTE_PGM_RSRC3_GFX90A:TG_SPLIT: 0
	.section	.text._ZN7rocprim17ROCPRIM_304000_NS6detail31init_lookback_scan_state_kernelINS1_19lookback_scan_stateIiLb0ELb1EEEEEvT_jjPNS5_10value_typeE,"axG",@progbits,_ZN7rocprim17ROCPRIM_304000_NS6detail31init_lookback_scan_state_kernelINS1_19lookback_scan_stateIiLb0ELb1EEEEEvT_jjPNS5_10value_typeE,comdat
	.protected	_ZN7rocprim17ROCPRIM_304000_NS6detail31init_lookback_scan_state_kernelINS1_19lookback_scan_stateIiLb0ELb1EEEEEvT_jjPNS5_10value_typeE ; -- Begin function _ZN7rocprim17ROCPRIM_304000_NS6detail31init_lookback_scan_state_kernelINS1_19lookback_scan_stateIiLb0ELb1EEEEEvT_jjPNS5_10value_typeE
	.globl	_ZN7rocprim17ROCPRIM_304000_NS6detail31init_lookback_scan_state_kernelINS1_19lookback_scan_stateIiLb0ELb1EEEEEvT_jjPNS5_10value_typeE
	.p2align	8
	.type	_ZN7rocprim17ROCPRIM_304000_NS6detail31init_lookback_scan_state_kernelINS1_19lookback_scan_stateIiLb0ELb1EEEEEvT_jjPNS5_10value_typeE,@function
_ZN7rocprim17ROCPRIM_304000_NS6detail31init_lookback_scan_state_kernelINS1_19lookback_scan_stateIiLb0ELb1EEEEEvT_jjPNS5_10value_typeE: ; @_ZN7rocprim17ROCPRIM_304000_NS6detail31init_lookback_scan_state_kernelINS1_19lookback_scan_stateIiLb0ELb1EEEEEvT_jjPNS5_10value_typeE
; %bb.0:
	s_load_dword s3, s[0:1], 0x24
	s_load_dwordx2 s[8:9], s[0:1], 0x10
	s_load_dwordx4 s[4:7], s[0:1], 0x0
	s_waitcnt lgkmcnt(0)
	s_and_b32 s0, s3, 0xffff
	s_mul_i32 s2, s2, s0
	s_cmp_eq_u64 s[8:9], 0
	v_add_u32_e32 v0, s2, v0
	s_cbranch_scc1 .LBB19_6
; %bb.1:
	s_cmp_lt_u32 s7, s6
	s_cselect_b32 s0, s7, 0
	s_mov_b32 s3, 0
	v_cmp_eq_u32_e32 vcc, s0, v0
	s_and_saveexec_b64 s[0:1], vcc
	s_cbranch_execz .LBB19_5
; %bb.2:
	s_add_i32 s2, s7, 64
	s_lshl_b64 s[2:3], s[2:3], 3
	s_add_u32 s2, s4, s2
	s_addc_u32 s3, s5, s3
	v_mov_b32_e32 v4, 0
	global_load_dwordx2 v[2:3], v4, s[2:3] sc1
	s_waitcnt vmcnt(0)
	v_and_b32_e32 v5, 0xff, v3
	v_cmp_ne_u64_e32 vcc, 0, v[4:5]
	s_cbranch_vccnz .LBB19_4
.LBB19_3:                               ; =>This Inner Loop Header: Depth=1
	global_load_dwordx2 v[2:3], v4, s[2:3] sc1
	s_waitcnt vmcnt(0)
	v_and_b32_e32 v5, 0xff, v3
	v_cmp_eq_u64_e32 vcc, 0, v[4:5]
	s_cbranch_vccnz .LBB19_3
.LBB19_4:
	v_mov_b32_e32 v1, 0
	global_store_dword v1, v2, s[8:9]
.LBB19_5:
	s_or_b64 exec, exec, s[0:1]
.LBB19_6:
	v_cmp_gt_u32_e32 vcc, s6, v0
	s_and_saveexec_b64 s[0:1], vcc
	s_cbranch_execnz .LBB19_9
; %bb.7:
	s_or_b64 exec, exec, s[0:1]
	v_cmp_gt_u32_e32 vcc, 64, v0
	s_and_saveexec_b64 s[0:1], vcc
	s_cbranch_execnz .LBB19_10
.LBB19_8:
	s_endpgm
.LBB19_9:
	v_add_u32_e32 v2, 64, v0
	v_mov_b32_e32 v3, 0
	v_lshl_add_u64 v[4:5], v[2:3], 3, s[4:5]
	v_mov_b32_e32 v2, v3
	global_store_dwordx2 v[4:5], v[2:3], off
	s_or_b64 exec, exec, s[0:1]
	v_cmp_gt_u32_e32 vcc, 64, v0
	s_and_saveexec_b64 s[0:1], vcc
	s_cbranch_execz .LBB19_8
.LBB19_10:
	v_mov_b32_e32 v1, 0
	v_lshl_add_u64 v[2:3], v[0:1], 3, s[4:5]
	v_mov_b32_e32 v5, 0xff
	v_mov_b32_e32 v4, v1
	global_store_dwordx2 v[2:3], v[4:5], off
	s_endpgm
	.section	.rodata,"a",@progbits
	.p2align	6, 0x0
	.amdhsa_kernel _ZN7rocprim17ROCPRIM_304000_NS6detail31init_lookback_scan_state_kernelINS1_19lookback_scan_stateIiLb0ELb1EEEEEvT_jjPNS5_10value_typeE
		.amdhsa_group_segment_fixed_size 0
		.amdhsa_private_segment_fixed_size 0
		.amdhsa_kernarg_size 280
		.amdhsa_user_sgpr_count 2
		.amdhsa_user_sgpr_dispatch_ptr 0
		.amdhsa_user_sgpr_queue_ptr 0
		.amdhsa_user_sgpr_kernarg_segment_ptr 1
		.amdhsa_user_sgpr_dispatch_id 0
		.amdhsa_user_sgpr_kernarg_preload_length 0
		.amdhsa_user_sgpr_kernarg_preload_offset 0
		.amdhsa_user_sgpr_private_segment_size 0
		.amdhsa_uses_dynamic_stack 0
		.amdhsa_enable_private_segment 0
		.amdhsa_system_sgpr_workgroup_id_x 1
		.amdhsa_system_sgpr_workgroup_id_y 0
		.amdhsa_system_sgpr_workgroup_id_z 0
		.amdhsa_system_sgpr_workgroup_info 0
		.amdhsa_system_vgpr_workitem_id 0
		.amdhsa_next_free_vgpr 6
		.amdhsa_next_free_sgpr 10
		.amdhsa_accum_offset 8
		.amdhsa_reserve_vcc 1
		.amdhsa_float_round_mode_32 0
		.amdhsa_float_round_mode_16_64 0
		.amdhsa_float_denorm_mode_32 3
		.amdhsa_float_denorm_mode_16_64 3
		.amdhsa_dx10_clamp 1
		.amdhsa_ieee_mode 1
		.amdhsa_fp16_overflow 0
		.amdhsa_tg_split 0
		.amdhsa_exception_fp_ieee_invalid_op 0
		.amdhsa_exception_fp_denorm_src 0
		.amdhsa_exception_fp_ieee_div_zero 0
		.amdhsa_exception_fp_ieee_overflow 0
		.amdhsa_exception_fp_ieee_underflow 0
		.amdhsa_exception_fp_ieee_inexact 0
		.amdhsa_exception_int_div_zero 0
	.end_amdhsa_kernel
	.section	.text._ZN7rocprim17ROCPRIM_304000_NS6detail31init_lookback_scan_state_kernelINS1_19lookback_scan_stateIiLb0ELb1EEEEEvT_jjPNS5_10value_typeE,"axG",@progbits,_ZN7rocprim17ROCPRIM_304000_NS6detail31init_lookback_scan_state_kernelINS1_19lookback_scan_stateIiLb0ELb1EEEEEvT_jjPNS5_10value_typeE,comdat
.Lfunc_end19:
	.size	_ZN7rocprim17ROCPRIM_304000_NS6detail31init_lookback_scan_state_kernelINS1_19lookback_scan_stateIiLb0ELb1EEEEEvT_jjPNS5_10value_typeE, .Lfunc_end19-_ZN7rocprim17ROCPRIM_304000_NS6detail31init_lookback_scan_state_kernelINS1_19lookback_scan_stateIiLb0ELb1EEEEEvT_jjPNS5_10value_typeE
                                        ; -- End function
	.section	.AMDGPU.csdata,"",@progbits
; Kernel info:
; codeLenInByte = 280
; NumSgprs: 16
; NumVgprs: 6
; NumAgprs: 0
; TotalNumVgprs: 6
; ScratchSize: 0
; MemoryBound: 0
; FloatMode: 240
; IeeeMode: 1
; LDSByteSize: 0 bytes/workgroup (compile time only)
; SGPRBlocks: 1
; VGPRBlocks: 0
; NumSGPRsForWavesPerEU: 16
; NumVGPRsForWavesPerEU: 6
; AccumOffset: 8
; Occupancy: 8
; WaveLimiterHint : 0
; COMPUTE_PGM_RSRC2:SCRATCH_EN: 0
; COMPUTE_PGM_RSRC2:USER_SGPR: 2
; COMPUTE_PGM_RSRC2:TRAP_HANDLER: 0
; COMPUTE_PGM_RSRC2:TGID_X_EN: 1
; COMPUTE_PGM_RSRC2:TGID_Y_EN: 0
; COMPUTE_PGM_RSRC2:TGID_Z_EN: 0
; COMPUTE_PGM_RSRC2:TIDIG_COMP_CNT: 0
; COMPUTE_PGM_RSRC3_GFX90A:ACCUM_OFFSET: 1
; COMPUTE_PGM_RSRC3_GFX90A:TG_SPLIT: 0
	.section	.text._ZN7rocprim17ROCPRIM_304000_NS6detail20lookback_scan_kernelILNS1_25lookback_scan_determinismE0ELb0ENS1_19wrapped_scan_configINS0_14default_configEiEEPKiPiSt10multipliesIiEiiNS1_19lookback_scan_stateIiLb1ELb1EEEEEvT2_T3_mT5_T4_T7_jPT6_SK_bb,"axG",@progbits,_ZN7rocprim17ROCPRIM_304000_NS6detail20lookback_scan_kernelILNS1_25lookback_scan_determinismE0ELb0ENS1_19wrapped_scan_configINS0_14default_configEiEEPKiPiSt10multipliesIiEiiNS1_19lookback_scan_stateIiLb1ELb1EEEEEvT2_T3_mT5_T4_T7_jPT6_SK_bb,comdat
	.protected	_ZN7rocprim17ROCPRIM_304000_NS6detail20lookback_scan_kernelILNS1_25lookback_scan_determinismE0ELb0ENS1_19wrapped_scan_configINS0_14default_configEiEEPKiPiSt10multipliesIiEiiNS1_19lookback_scan_stateIiLb1ELb1EEEEEvT2_T3_mT5_T4_T7_jPT6_SK_bb ; -- Begin function _ZN7rocprim17ROCPRIM_304000_NS6detail20lookback_scan_kernelILNS1_25lookback_scan_determinismE0ELb0ENS1_19wrapped_scan_configINS0_14default_configEiEEPKiPiSt10multipliesIiEiiNS1_19lookback_scan_stateIiLb1ELb1EEEEEvT2_T3_mT5_T4_T7_jPT6_SK_bb
	.globl	_ZN7rocprim17ROCPRIM_304000_NS6detail20lookback_scan_kernelILNS1_25lookback_scan_determinismE0ELb0ENS1_19wrapped_scan_configINS0_14default_configEiEEPKiPiSt10multipliesIiEiiNS1_19lookback_scan_stateIiLb1ELb1EEEEEvT2_T3_mT5_T4_T7_jPT6_SK_bb
	.p2align	8
	.type	_ZN7rocprim17ROCPRIM_304000_NS6detail20lookback_scan_kernelILNS1_25lookback_scan_determinismE0ELb0ENS1_19wrapped_scan_configINS0_14default_configEiEEPKiPiSt10multipliesIiEiiNS1_19lookback_scan_stateIiLb1ELb1EEEEEvT2_T3_mT5_T4_T7_jPT6_SK_bb,@function
_ZN7rocprim17ROCPRIM_304000_NS6detail20lookback_scan_kernelILNS1_25lookback_scan_determinismE0ELb0ENS1_19wrapped_scan_configINS0_14default_configEiEEPKiPiSt10multipliesIiEiiNS1_19lookback_scan_stateIiLb1ELb1EEEEEvT2_T3_mT5_T4_T7_jPT6_SK_bb: ; @_ZN7rocprim17ROCPRIM_304000_NS6detail20lookback_scan_kernelILNS1_25lookback_scan_determinismE0ELb0ENS1_19wrapped_scan_configINS0_14default_configEiEEPKiPiSt10multipliesIiEiiNS1_19lookback_scan_stateIiLb1ELb1EEEEEvT2_T3_mT5_T4_T7_jPT6_SK_bb
; %bb.0:
	s_endpgm
	.section	.rodata,"a",@progbits
	.p2align	6, 0x0
	.amdhsa_kernel _ZN7rocprim17ROCPRIM_304000_NS6detail20lookback_scan_kernelILNS1_25lookback_scan_determinismE0ELb0ENS1_19wrapped_scan_configINS0_14default_configEiEEPKiPiSt10multipliesIiEiiNS1_19lookback_scan_stateIiLb1ELb1EEEEEvT2_T3_mT5_T4_T7_jPT6_SK_bb
		.amdhsa_group_segment_fixed_size 0
		.amdhsa_private_segment_fixed_size 0
		.amdhsa_kernarg_size 68
		.amdhsa_user_sgpr_count 2
		.amdhsa_user_sgpr_dispatch_ptr 0
		.amdhsa_user_sgpr_queue_ptr 0
		.amdhsa_user_sgpr_kernarg_segment_ptr 1
		.amdhsa_user_sgpr_dispatch_id 0
		.amdhsa_user_sgpr_kernarg_preload_length 0
		.amdhsa_user_sgpr_kernarg_preload_offset 0
		.amdhsa_user_sgpr_private_segment_size 0
		.amdhsa_uses_dynamic_stack 0
		.amdhsa_enable_private_segment 0
		.amdhsa_system_sgpr_workgroup_id_x 1
		.amdhsa_system_sgpr_workgroup_id_y 0
		.amdhsa_system_sgpr_workgroup_id_z 0
		.amdhsa_system_sgpr_workgroup_info 0
		.amdhsa_system_vgpr_workitem_id 0
		.amdhsa_next_free_vgpr 1
		.amdhsa_next_free_sgpr 0
		.amdhsa_accum_offset 4
		.amdhsa_reserve_vcc 0
		.amdhsa_float_round_mode_32 0
		.amdhsa_float_round_mode_16_64 0
		.amdhsa_float_denorm_mode_32 3
		.amdhsa_float_denorm_mode_16_64 3
		.amdhsa_dx10_clamp 1
		.amdhsa_ieee_mode 1
		.amdhsa_fp16_overflow 0
		.amdhsa_tg_split 0
		.amdhsa_exception_fp_ieee_invalid_op 0
		.amdhsa_exception_fp_denorm_src 0
		.amdhsa_exception_fp_ieee_div_zero 0
		.amdhsa_exception_fp_ieee_overflow 0
		.amdhsa_exception_fp_ieee_underflow 0
		.amdhsa_exception_fp_ieee_inexact 0
		.amdhsa_exception_int_div_zero 0
	.end_amdhsa_kernel
	.section	.text._ZN7rocprim17ROCPRIM_304000_NS6detail20lookback_scan_kernelILNS1_25lookback_scan_determinismE0ELb0ENS1_19wrapped_scan_configINS0_14default_configEiEEPKiPiSt10multipliesIiEiiNS1_19lookback_scan_stateIiLb1ELb1EEEEEvT2_T3_mT5_T4_T7_jPT6_SK_bb,"axG",@progbits,_ZN7rocprim17ROCPRIM_304000_NS6detail20lookback_scan_kernelILNS1_25lookback_scan_determinismE0ELb0ENS1_19wrapped_scan_configINS0_14default_configEiEEPKiPiSt10multipliesIiEiiNS1_19lookback_scan_stateIiLb1ELb1EEEEEvT2_T3_mT5_T4_T7_jPT6_SK_bb,comdat
.Lfunc_end20:
	.size	_ZN7rocprim17ROCPRIM_304000_NS6detail20lookback_scan_kernelILNS1_25lookback_scan_determinismE0ELb0ENS1_19wrapped_scan_configINS0_14default_configEiEEPKiPiSt10multipliesIiEiiNS1_19lookback_scan_stateIiLb1ELb1EEEEEvT2_T3_mT5_T4_T7_jPT6_SK_bb, .Lfunc_end20-_ZN7rocprim17ROCPRIM_304000_NS6detail20lookback_scan_kernelILNS1_25lookback_scan_determinismE0ELb0ENS1_19wrapped_scan_configINS0_14default_configEiEEPKiPiSt10multipliesIiEiiNS1_19lookback_scan_stateIiLb1ELb1EEEEEvT2_T3_mT5_T4_T7_jPT6_SK_bb
                                        ; -- End function
	.section	.AMDGPU.csdata,"",@progbits
; Kernel info:
; codeLenInByte = 4
; NumSgprs: 6
; NumVgprs: 0
; NumAgprs: 0
; TotalNumVgprs: 0
; ScratchSize: 0
; MemoryBound: 0
; FloatMode: 240
; IeeeMode: 1
; LDSByteSize: 0 bytes/workgroup (compile time only)
; SGPRBlocks: 0
; VGPRBlocks: 0
; NumSGPRsForWavesPerEU: 6
; NumVGPRsForWavesPerEU: 1
; AccumOffset: 4
; Occupancy: 8
; WaveLimiterHint : 0
; COMPUTE_PGM_RSRC2:SCRATCH_EN: 0
; COMPUTE_PGM_RSRC2:USER_SGPR: 2
; COMPUTE_PGM_RSRC2:TRAP_HANDLER: 0
; COMPUTE_PGM_RSRC2:TGID_X_EN: 1
; COMPUTE_PGM_RSRC2:TGID_Y_EN: 0
; COMPUTE_PGM_RSRC2:TGID_Z_EN: 0
; COMPUTE_PGM_RSRC2:TIDIG_COMP_CNT: 0
; COMPUTE_PGM_RSRC3_GFX90A:ACCUM_OFFSET: 0
; COMPUTE_PGM_RSRC3_GFX90A:TG_SPLIT: 0
	.section	.text._ZN7rocprim17ROCPRIM_304000_NS6detail20lookback_scan_kernelILNS1_25lookback_scan_determinismE0ELb0ENS1_19wrapped_scan_configINS0_14default_configEiEEPKiPiSt10multipliesIiEiiNS1_19lookback_scan_stateIiLb0ELb1EEEEEvT2_T3_mT5_T4_T7_jPT6_SK_bb,"axG",@progbits,_ZN7rocprim17ROCPRIM_304000_NS6detail20lookback_scan_kernelILNS1_25lookback_scan_determinismE0ELb0ENS1_19wrapped_scan_configINS0_14default_configEiEEPKiPiSt10multipliesIiEiiNS1_19lookback_scan_stateIiLb0ELb1EEEEEvT2_T3_mT5_T4_T7_jPT6_SK_bb,comdat
	.protected	_ZN7rocprim17ROCPRIM_304000_NS6detail20lookback_scan_kernelILNS1_25lookback_scan_determinismE0ELb0ENS1_19wrapped_scan_configINS0_14default_configEiEEPKiPiSt10multipliesIiEiiNS1_19lookback_scan_stateIiLb0ELb1EEEEEvT2_T3_mT5_T4_T7_jPT6_SK_bb ; -- Begin function _ZN7rocprim17ROCPRIM_304000_NS6detail20lookback_scan_kernelILNS1_25lookback_scan_determinismE0ELb0ENS1_19wrapped_scan_configINS0_14default_configEiEEPKiPiSt10multipliesIiEiiNS1_19lookback_scan_stateIiLb0ELb1EEEEEvT2_T3_mT5_T4_T7_jPT6_SK_bb
	.globl	_ZN7rocprim17ROCPRIM_304000_NS6detail20lookback_scan_kernelILNS1_25lookback_scan_determinismE0ELb0ENS1_19wrapped_scan_configINS0_14default_configEiEEPKiPiSt10multipliesIiEiiNS1_19lookback_scan_stateIiLb0ELb1EEEEEvT2_T3_mT5_T4_T7_jPT6_SK_bb
	.p2align	8
	.type	_ZN7rocprim17ROCPRIM_304000_NS6detail20lookback_scan_kernelILNS1_25lookback_scan_determinismE0ELb0ENS1_19wrapped_scan_configINS0_14default_configEiEEPKiPiSt10multipliesIiEiiNS1_19lookback_scan_stateIiLb0ELb1EEEEEvT2_T3_mT5_T4_T7_jPT6_SK_bb,@function
_ZN7rocprim17ROCPRIM_304000_NS6detail20lookback_scan_kernelILNS1_25lookback_scan_determinismE0ELb0ENS1_19wrapped_scan_configINS0_14default_configEiEEPKiPiSt10multipliesIiEiiNS1_19lookback_scan_stateIiLb0ELb1EEEEEvT2_T3_mT5_T4_T7_jPT6_SK_bb: ; @_ZN7rocprim17ROCPRIM_304000_NS6detail20lookback_scan_kernelILNS1_25lookback_scan_determinismE0ELb0ENS1_19wrapped_scan_configINS0_14default_configEiEEPKiPiSt10multipliesIiEiiNS1_19lookback_scan_stateIiLb0ELb1EEEEEvT2_T3_mT5_T4_T7_jPT6_SK_bb
; %bb.0:
	s_load_dword s3, s[0:1], 0x28
	s_load_dwordx4 s[8:11], s[0:1], 0x0
	s_load_dwordx2 s[4:5], s[0:1], 0x10
	s_mul_i32 s6, s2, 0x1500
	s_mov_b32 s7, 0
	s_waitcnt lgkmcnt(0)
	s_add_i32 s3, s3, -1
	s_mul_i32 s12, s3, 0x1500
	s_sub_u32 s20, s4, s12
	s_subb_u32 s21, s5, 0
	s_cmp_lg_u32 s2, s3
	s_cselect_b64 s[12:13], -1, 0
	s_lshl_b64 s[14:15], s[6:7], 2
	s_add_u32 s6, s8, s14
	s_addc_u32 s7, s9, s15
	s_mov_b64 s[4:5], -1
	s_and_b64 vcc, exec, s[12:13]
	v_lshlrev_b32_e32 v2, 2, v0
	s_cbranch_vccz .LBB21_2
; %bb.1:
	v_mov_b32_e32 v3, 0
	v_lshl_add_u64 v[4:5], s[6:7], 0, v[2:3]
	v_add_co_u32_e32 v6, vcc, 0x1000, v4
	global_load_dword v1, v2, s[6:7]
	global_load_dword v3, v2, s[6:7] offset:1024
	global_load_dword v10, v2, s[6:7] offset:2048
	;; [unrolled: 1-line block ×3, first 2 shown]
	v_addc_co_u32_e32 v7, vcc, 0, v5, vcc
	v_add_co_u32_e32 v8, vcc, 0x2000, v4
	s_mov_b64 s[4:5], 0
	s_nop 0
	v_addc_co_u32_e32 v9, vcc, 0, v5, vcc
	global_load_dword v12, v[6:7], off
	global_load_dword v13, v[6:7], off offset:1024
	global_load_dword v14, v[6:7], off offset:2048
	;; [unrolled: 1-line block ×3, first 2 shown]
	global_load_dword v16, v[8:9], off
	global_load_dword v17, v[8:9], off offset:1024
	global_load_dword v18, v[8:9], off offset:2048
	;; [unrolled: 1-line block ×3, first 2 shown]
	v_add_co_u32_e32 v6, vcc, 0x3000, v4
	s_nop 1
	v_addc_co_u32_e32 v7, vcc, 0, v5, vcc
	v_add_co_u32_e32 v8, vcc, 0x4000, v4
	s_nop 1
	v_addc_co_u32_e32 v9, vcc, 0, v5, vcc
	global_load_dword v20, v[6:7], off
	global_load_dword v21, v[6:7], off offset:1024
	global_load_dword v22, v[6:7], off offset:2048
	;; [unrolled: 1-line block ×3, first 2 shown]
	global_load_dword v24, v[8:9], off
	global_load_dword v25, v[8:9], off offset:1024
	global_load_dword v26, v[8:9], off offset:2048
	;; [unrolled: 1-line block ×3, first 2 shown]
	v_add_co_u32_e32 v4, vcc, 0x5000, v4
	s_nop 1
	v_addc_co_u32_e32 v5, vcc, 0, v5, vcc
	global_load_dword v4, v[4:5], off
	s_waitcnt vmcnt(19)
	ds_write2st64_b32 v2, v1, v3 offset1:4
	s_waitcnt vmcnt(17)
	ds_write2st64_b32 v2, v10, v11 offset0:8 offset1:12
	s_waitcnt vmcnt(15)
	ds_write2st64_b32 v2, v12, v13 offset0:16 offset1:20
	s_waitcnt vmcnt(13)
	ds_write2st64_b32 v2, v14, v15 offset0:24 offset1:28
	s_waitcnt vmcnt(11)
	ds_write2st64_b32 v2, v16, v17 offset0:32 offset1:36
	s_waitcnt vmcnt(9)
	ds_write2st64_b32 v2, v18, v19 offset0:40 offset1:44
	s_waitcnt vmcnt(7)
	ds_write2st64_b32 v2, v20, v21 offset0:48 offset1:52
	s_waitcnt vmcnt(5)
	ds_write2st64_b32 v2, v22, v23 offset0:56 offset1:60
	s_waitcnt vmcnt(3)
	ds_write2st64_b32 v2, v24, v25 offset0:64 offset1:68
	s_waitcnt vmcnt(1)
	ds_write2st64_b32 v2, v26, v27 offset0:72 offset1:76
	s_waitcnt vmcnt(0)
	ds_write_b32 v2, v4 offset:20480
	s_waitcnt lgkmcnt(0)
	s_barrier
.LBB21_2:
	s_andn2_b64 vcc, exec, s[4:5]
	v_cmp_gt_u32_e64 s[4:5], s20, v0
	s_cbranch_vccnz .LBB21_46
; %bb.3:
	s_load_dword s3, s[6:7], 0x0
	v_mov_b32_e32 v3, 0
	v_lshl_add_u64 v[4:5], s[6:7], 0, v[2:3]
	s_waitcnt lgkmcnt(0)
	v_mov_b32_e32 v1, s3
	s_and_saveexec_b64 s[6:7], s[4:5]
	s_cbranch_execz .LBB21_5
; %bb.4:
	global_load_dword v1, v[4:5], off
.LBB21_5:
	s_or_b64 exec, exec, s[6:7]
	v_or_b32_e32 v3, 0x100, v0
	v_cmp_gt_u32_e32 vcc, s20, v3
	v_mov_b32_e32 v3, s3
	s_and_saveexec_b64 s[4:5], vcc
	s_cbranch_execz .LBB21_7
; %bb.6:
	global_load_dword v3, v[4:5], off offset:1024
.LBB21_7:
	s_or_b64 exec, exec, s[4:5]
	v_or_b32_e32 v6, 0x200, v0
	v_cmp_gt_u32_e32 vcc, s20, v6
	v_mov_b32_e32 v6, s3
	s_and_saveexec_b64 s[4:5], vcc
	s_cbranch_execz .LBB21_9
; %bb.8:
	global_load_dword v6, v[4:5], off offset:2048
.LBB21_9:
	;; [unrolled: 9-line block ×3, first 2 shown]
	s_or_b64 exec, exec, s[4:5]
	v_or_b32_e32 v8, 0x400, v0
	v_cmp_gt_u32_e32 vcc, s20, v8
	v_mov_b32_e32 v8, s3
	s_and_saveexec_b64 s[4:5], vcc
	s_cbranch_execz .LBB21_13
; %bb.12:
	v_add_co_u32_e32 v8, vcc, 0x1000, v4
	s_nop 1
	v_addc_co_u32_e32 v9, vcc, 0, v5, vcc
	global_load_dword v8, v[8:9], off
.LBB21_13:
	s_or_b64 exec, exec, s[4:5]
	v_or_b32_e32 v9, 0x500, v0
	v_cmp_gt_u32_e32 vcc, s20, v9
	v_mov_b32_e32 v9, s3
	s_and_saveexec_b64 s[4:5], vcc
	s_cbranch_execz .LBB21_15
; %bb.14:
	v_add_co_u32_e32 v10, vcc, 0x1000, v4
	s_nop 1
	v_addc_co_u32_e32 v11, vcc, 0, v5, vcc
	global_load_dword v9, v[10:11], off offset:1024
.LBB21_15:
	s_or_b64 exec, exec, s[4:5]
	v_or_b32_e32 v10, 0x600, v0
	v_cmp_gt_u32_e32 vcc, s20, v10
	v_mov_b32_e32 v10, s3
	s_and_saveexec_b64 s[4:5], vcc
	s_cbranch_execz .LBB21_17
; %bb.16:
	v_add_co_u32_e32 v10, vcc, 0x1000, v4
	s_nop 1
	v_addc_co_u32_e32 v11, vcc, 0, v5, vcc
	global_load_dword v10, v[10:11], off offset:2048
.LBB21_17:
	s_or_b64 exec, exec, s[4:5]
	v_or_b32_e32 v11, 0x700, v0
	v_cmp_gt_u32_e32 vcc, s20, v11
	v_mov_b32_e32 v11, s3
	s_and_saveexec_b64 s[4:5], vcc
	s_cbranch_execz .LBB21_19
; %bb.18:
	v_add_co_u32_e32 v12, vcc, 0x1000, v4
	s_nop 1
	v_addc_co_u32_e32 v13, vcc, 0, v5, vcc
	global_load_dword v11, v[12:13], off offset:3072
.LBB21_19:
	s_or_b64 exec, exec, s[4:5]
	v_or_b32_e32 v12, 0x800, v0
	v_cmp_gt_u32_e32 vcc, s20, v12
	v_mov_b32_e32 v12, s3
	s_and_saveexec_b64 s[4:5], vcc
	s_cbranch_execz .LBB21_21
; %bb.20:
	v_add_co_u32_e32 v12, vcc, 0x2000, v4
	s_nop 1
	v_addc_co_u32_e32 v13, vcc, 0, v5, vcc
	global_load_dword v12, v[12:13], off
.LBB21_21:
	s_or_b64 exec, exec, s[4:5]
	v_or_b32_e32 v13, 0x900, v0
	v_cmp_gt_u32_e32 vcc, s20, v13
	v_mov_b32_e32 v13, s3
	s_and_saveexec_b64 s[4:5], vcc
	s_cbranch_execz .LBB21_23
; %bb.22:
	v_add_co_u32_e32 v14, vcc, 0x2000, v4
	s_nop 1
	v_addc_co_u32_e32 v15, vcc, 0, v5, vcc
	global_load_dword v13, v[14:15], off offset:1024
.LBB21_23:
	s_or_b64 exec, exec, s[4:5]
	v_or_b32_e32 v14, 0xa00, v0
	v_cmp_gt_u32_e32 vcc, s20, v14
	v_mov_b32_e32 v14, s3
	s_and_saveexec_b64 s[4:5], vcc
	s_cbranch_execz .LBB21_25
; %bb.24:
	v_add_co_u32_e32 v14, vcc, 0x2000, v4
	s_nop 1
	v_addc_co_u32_e32 v15, vcc, 0, v5, vcc
	global_load_dword v14, v[14:15], off offset:2048
.LBB21_25:
	s_or_b64 exec, exec, s[4:5]
	v_or_b32_e32 v15, 0xb00, v0
	v_cmp_gt_u32_e32 vcc, s20, v15
	v_mov_b32_e32 v15, s3
	s_and_saveexec_b64 s[4:5], vcc
	s_cbranch_execz .LBB21_27
; %bb.26:
	v_add_co_u32_e32 v16, vcc, 0x2000, v4
	s_nop 1
	v_addc_co_u32_e32 v17, vcc, 0, v5, vcc
	global_load_dword v15, v[16:17], off offset:3072
.LBB21_27:
	;; [unrolled: 48-line block ×4, first 2 shown]
	s_or_b64 exec, exec, s[4:5]
	v_or_b32_e32 v24, 0x1400, v0
	v_cmp_gt_u32_e32 vcc, s20, v24
	v_mov_b32_e32 v24, s3
	s_and_saveexec_b64 s[4:5], vcc
	s_cbranch_execz .LBB21_45
; %bb.44:
	v_add_co_u32_e32 v4, vcc, 0x5000, v4
	s_nop 1
	v_addc_co_u32_e32 v5, vcc, 0, v5, vcc
	global_load_dword v24, v[4:5], off
.LBB21_45:
	s_or_b64 exec, exec, s[4:5]
	s_waitcnt vmcnt(0)
	ds_write2st64_b32 v2, v1, v3 offset1:4
	ds_write2st64_b32 v2, v6, v7 offset0:8 offset1:12
	ds_write2st64_b32 v2, v8, v9 offset0:16 offset1:20
	ds_write2st64_b32 v2, v10, v11 offset0:24 offset1:28
	ds_write2st64_b32 v2, v12, v13 offset0:32 offset1:36
	ds_write2st64_b32 v2, v14, v15 offset0:40 offset1:44
	ds_write2st64_b32 v2, v16, v17 offset0:48 offset1:52
	ds_write2st64_b32 v2, v18, v19 offset0:56 offset1:60
	ds_write2st64_b32 v2, v20, v21 offset0:64 offset1:68
	ds_write2st64_b32 v2, v22, v23 offset0:72 offset1:76
	ds_write_b32 v2, v24 offset:20480
	s_waitcnt lgkmcnt(0)
	s_barrier
.LBB21_46:
	v_mul_u32_u24_e32 v34, 21, v0
	v_lshlrev_b32_e32 v1, 2, v34
	ds_read2_b32 v[20:21], v1 offset1:1
	ds_read2_b32 v[22:23], v1 offset0:2 offset1:3
	ds_read2_b32 v[18:19], v1 offset0:4 offset1:5
	;; [unrolled: 1-line block ×9, first 2 shown]
	ds_read_b32 v1, v1 offset:80
	s_load_dwordx2 s[8:9], s[0:1], 0x20
	s_cmp_lg_u32 s2, 0
	v_mbcnt_lo_u32_b32 v36, -1, 0
	v_lshrrev_b32_e32 v3, 6, v0
	v_or_b32_e32 v35, 63, v0
	s_waitcnt lgkmcnt(0)
	s_barrier
	s_cbranch_scc0 .LBB21_73
; %bb.47:
	v_mul_lo_u32 v24, v21, v20
	v_mul_lo_u32 v24, v24, v22
	;; [unrolled: 1-line block ×19, first 2 shown]
	v_mbcnt_hi_u32_b32 v27, -1, v36
	v_mul_lo_u32 v24, v24, v1
	v_and_b32_e32 v25, 15, v27
	v_cmp_ne_u32_e32 vcc, 0, v25
	v_mov_b32_dpp v26, v24 row_shr:1 row_mask:0xf bank_mask:0xf
	s_nop 0
	v_cndmask_b32_e32 v26, 1, v26, vcc
	v_mul_lo_u32 v24, v26, v24
	v_cmp_lt_u32_e32 vcc, 1, v25
	s_nop 0
	v_mov_b32_dpp v26, v24 row_shr:2 row_mask:0xf bank_mask:0xf
	v_cndmask_b32_e32 v26, 1, v26, vcc
	v_mul_lo_u32 v24, v24, v26
	v_cmp_lt_u32_e32 vcc, 3, v25
	s_nop 0
	v_mov_b32_dpp v26, v24 row_shr:4 row_mask:0xf bank_mask:0xf
	v_cndmask_b32_e32 v26, 1, v26, vcc
	v_mul_lo_u32 v24, v24, v26
	v_cmp_lt_u32_e32 vcc, 7, v25
	s_nop 0
	v_mov_b32_dpp v26, v24 row_shr:8 row_mask:0xf bank_mask:0xf
	v_cndmask_b32_e32 v25, 1, v26, vcc
	v_mul_lo_u32 v24, v24, v25
	v_and_b32_e32 v26, 16, v27
	v_cmp_ne_u32_e32 vcc, 0, v26
	v_mov_b32_dpp v25, v24 row_bcast:15 row_mask:0xf bank_mask:0xf
	s_nop 0
	v_cndmask_b32_e32 v25, 1, v25, vcc
	v_mul_lo_u32 v24, v24, v25
	v_cmp_lt_u32_e32 vcc, 31, v27
	s_nop 0
	v_mov_b32_dpp v25, v24 row_bcast:31 row_mask:0xf bank_mask:0xf
	v_cndmask_b32_e32 v25, 1, v25, vcc
	v_mul_lo_u32 v24, v24, v25
	v_cmp_eq_u32_e32 vcc, v35, v0
	s_and_saveexec_b64 s[4:5], vcc
	s_cbranch_execz .LBB21_49
; %bb.48:
	v_lshlrev_b32_e32 v25, 2, v3
	ds_write_b32 v25, v24
.LBB21_49:
	s_or_b64 exec, exec, s[4:5]
	v_cmp_gt_u32_e32 vcc, 4, v0
	s_waitcnt lgkmcnt(0)
	s_barrier
	s_and_saveexec_b64 s[4:5], vcc
	s_cbranch_execz .LBB21_51
; %bb.50:
	ds_read_b32 v25, v2
	v_and_b32_e32 v26, 3, v27
	v_cmp_ne_u32_e32 vcc, 0, v26
	s_waitcnt lgkmcnt(0)
	v_mov_b32_dpp v28, v25 row_shr:1 row_mask:0xf bank_mask:0xf
	v_cndmask_b32_e32 v28, 1, v28, vcc
	v_mul_lo_u32 v25, v28, v25
	v_cmp_lt_u32_e32 vcc, 1, v26
	s_nop 0
	v_mov_b32_dpp v28, v25 row_shr:2 row_mask:0xf bank_mask:0xf
	v_cndmask_b32_e32 v26, 1, v28, vcc
	v_mul_lo_u32 v25, v25, v26
	ds_write_b32 v2, v25
.LBB21_51:
	s_or_b64 exec, exec, s[4:5]
	v_cmp_gt_u32_e32 vcc, 64, v0
	v_cmp_lt_u32_e64 s[4:5], 63, v0
	s_waitcnt lgkmcnt(0)
	s_barrier
	s_waitcnt lgkmcnt(0)
                                        ; implicit-def: $vgpr37
	s_and_saveexec_b64 s[6:7], s[4:5]
	s_cbranch_execz .LBB21_53
; %bb.52:
	v_lshl_add_u32 v25, v3, 2, -4
	ds_read_b32 v37, v25
	s_waitcnt lgkmcnt(0)
	v_mul_lo_u32 v24, v37, v24
.LBB21_53:
	s_or_b64 exec, exec, s[6:7]
	v_add_u32_e32 v25, -1, v27
	v_and_b32_e32 v26, 64, v27
	v_cmp_lt_i32_e64 s[4:5], v25, v26
	s_nop 1
	v_cndmask_b32_e64 v25, v25, v27, s[4:5]
	v_lshlrev_b32_e32 v25, 2, v25
	ds_bpermute_b32 v38, v25, v24
	v_cmp_eq_u32_e64 s[4:5], 0, v27
	s_and_saveexec_b64 s[6:7], vcc
	s_cbranch_execz .LBB21_72
; %bb.54:
	v_mov_b32_e32 v31, 0
	ds_read_b32 v24, v31 offset:12
	s_and_saveexec_b64 s[16:17], s[4:5]
	s_cbranch_execz .LBB21_56
; %bb.55:
	s_add_i32 s18, s2, 64
	s_mov_b32 s19, 0
	s_lshl_b64 s[18:19], s[18:19], 3
	s_add_u32 s18, s8, s18
	s_addc_u32 s19, s9, s19
	v_mov_b32_e32 v25, 1
	s_waitcnt lgkmcnt(0)
	global_store_dwordx2 v31, v[24:25], s[18:19] sc1
.LBB21_56:
	s_or_b64 exec, exec, s[16:17]
	v_xad_u32 v26, v27, -1, s2
	v_add_u32_e32 v30, 64, v26
	v_lshl_add_u64 v[32:33], v[30:31], 3, s[8:9]
	global_load_dwordx2 v[28:29], v[32:33], off sc1
	s_waitcnt vmcnt(0)
	v_cmp_eq_u16_sdwa s[18:19], v29, v31 src0_sel:BYTE_0 src1_sel:DWORD
	s_and_saveexec_b64 s[16:17], s[18:19]
	s_cbranch_execz .LBB21_60
; %bb.57:
	s_mov_b64 s[18:19], 0
	v_mov_b32_e32 v25, 0
.LBB21_58:                              ; =>This Inner Loop Header: Depth=1
	global_load_dwordx2 v[28:29], v[32:33], off sc1
	s_waitcnt vmcnt(0)
	v_cmp_ne_u16_sdwa s[22:23], v29, v25 src0_sel:BYTE_0 src1_sel:DWORD
	s_or_b64 s[18:19], s[22:23], s[18:19]
	s_andn2_b64 exec, exec, s[18:19]
	s_cbranch_execnz .LBB21_58
; %bb.59:
	s_or_b64 exec, exec, s[18:19]
.LBB21_60:
	s_or_b64 exec, exec, s[16:17]
	v_and_b32_e32 v47, 63, v27
	v_mov_b32_e32 v25, 2
	v_cmp_ne_u32_e32 vcc, 63, v47
	v_cmp_eq_u16_sdwa s[16:17], v29, v25 src0_sel:BYTE_0 src1_sel:DWORD
	v_lshlrev_b64 v[30:31], v27, -1
	v_addc_co_u32_e32 v39, vcc, 0, v27, vcc
	v_and_b32_e32 v32, s17, v31
	v_lshlrev_b32_e32 v39, 2, v39
	v_or_b32_e32 v32, 0x80000000, v32
	ds_bpermute_b32 v41, v39, v28
	v_and_b32_e32 v33, s16, v30
	v_ffbl_b32_e32 v32, v32
	v_add_u32_e32 v32, 32, v32
	v_ffbl_b32_e32 v33, v33
	v_min_u32_e32 v32, v33, v32
	v_add_u32_e32 v40, 1, v27
	v_cmp_le_u32_e32 vcc, v40, v32
	v_add_u32_e32 v42, 2, v27
	v_add_u32_e32 v44, 4, v27
	s_waitcnt lgkmcnt(0)
	v_cndmask_b32_e32 v33, 1, v41, vcc
	v_cmp_gt_u32_e32 vcc, 62, v47
	v_mul_lo_u32 v28, v33, v28
	v_add_u32_e32 v46, 8, v27
	v_cndmask_b32_e64 v33, 0, 1, vcc
	v_lshlrev_b32_e32 v33, 1, v33
	v_add_lshl_u32 v41, v33, v27, 2
	ds_bpermute_b32 v33, v41, v28
	v_cmp_le_u32_e32 vcc, v42, v32
	v_add_u32_e32 v49, 16, v27
	v_add_u32_e32 v51, 32, v27
	s_waitcnt lgkmcnt(0)
	v_cndmask_b32_e32 v33, 1, v33, vcc
	v_cmp_gt_u32_e32 vcc, 60, v47
	v_mul_lo_u32 v28, v28, v33
	s_nop 0
	v_cndmask_b32_e64 v33, 0, 1, vcc
	v_lshlrev_b32_e32 v33, 2, v33
	v_add_lshl_u32 v43, v33, v27, 2
	ds_bpermute_b32 v33, v43, v28
	v_cmp_le_u32_e32 vcc, v44, v32
	s_waitcnt lgkmcnt(0)
	s_nop 0
	v_cndmask_b32_e32 v33, 1, v33, vcc
	v_cmp_gt_u32_e32 vcc, 56, v47
	v_mul_lo_u32 v28, v28, v33
	s_nop 0
	v_cndmask_b32_e64 v33, 0, 1, vcc
	v_lshlrev_b32_e32 v33, 3, v33
	v_add_lshl_u32 v45, v33, v27, 2
	ds_bpermute_b32 v33, v45, v28
	v_cmp_le_u32_e32 vcc, v46, v32
	s_waitcnt lgkmcnt(0)
	s_nop 0
	;; [unrolled: 11-line block ×4, first 2 shown]
	v_cndmask_b32_e32 v27, 1, v33, vcc
	v_mul_lo_u32 v28, v28, v27
	v_mov_b32_e32 v27, 0
	s_branch .LBB21_62
.LBB21_61:                              ;   in Loop: Header=BB21_62 Depth=1
	s_or_b64 exec, exec, s[16:17]
	v_cmp_eq_u16_sdwa s[16:17], v29, v25 src0_sel:BYTE_0 src1_sel:DWORD
	ds_bpermute_b32 v52, v39, v28
	v_subrev_u32_e32 v26, 64, v26
	v_and_b32_e32 v32, s17, v31
	v_or_b32_e32 v32, 0x80000000, v32
	v_and_b32_e32 v33, s16, v30
	v_ffbl_b32_e32 v32, v32
	v_add_u32_e32 v32, 32, v32
	v_ffbl_b32_e32 v33, v33
	v_min_u32_e32 v32, v33, v32
	v_cmp_le_u32_e32 vcc, v40, v32
	s_waitcnt lgkmcnt(0)
	s_nop 0
	v_cndmask_b32_e32 v33, 1, v52, vcc
	v_mul_lo_u32 v28, v33, v28
	ds_bpermute_b32 v33, v41, v28
	v_cmp_le_u32_e32 vcc, v42, v32
	s_waitcnt lgkmcnt(0)
	s_nop 0
	v_cndmask_b32_e32 v33, 1, v33, vcc
	v_mul_lo_u32 v28, v28, v33
	ds_bpermute_b32 v33, v43, v28
	;; [unrolled: 6-line block ×5, first 2 shown]
	v_cmp_le_u32_e32 vcc, v51, v32
	s_waitcnt lgkmcnt(0)
	s_nop 0
	v_cndmask_b32_e32 v32, 1, v33, vcc
	v_mul_lo_u32 v32, v32, v47
	v_mul_lo_u32 v28, v32, v28
.LBB21_62:                              ; =>This Loop Header: Depth=1
                                        ;     Child Loop BB21_65 Depth 2
	v_cmp_ne_u16_sdwa s[16:17], v29, v25 src0_sel:BYTE_0 src1_sel:DWORD
	v_mov_b32_e32 v47, v28
	s_nop 0
	v_cndmask_b32_e64 v29, 0, 1, s[16:17]
	;;#ASMSTART
	;;#ASMEND
	s_nop 0
	v_cmp_ne_u32_e32 vcc, 0, v29
	s_cmp_lg_u64 vcc, exec
	s_cbranch_scc1 .LBB21_67
; %bb.63:                               ;   in Loop: Header=BB21_62 Depth=1
	v_lshl_add_u64 v[32:33], v[26:27], 3, s[8:9]
	global_load_dwordx2 v[28:29], v[32:33], off sc1
	s_waitcnt vmcnt(0)
	v_cmp_eq_u16_sdwa s[18:19], v29, v27 src0_sel:BYTE_0 src1_sel:DWORD
	s_and_saveexec_b64 s[16:17], s[18:19]
	s_cbranch_execz .LBB21_61
; %bb.64:                               ;   in Loop: Header=BB21_62 Depth=1
	s_mov_b64 s[18:19], 0
.LBB21_65:                              ;   Parent Loop BB21_62 Depth=1
                                        ; =>  This Inner Loop Header: Depth=2
	global_load_dwordx2 v[28:29], v[32:33], off sc1
	s_waitcnt vmcnt(0)
	v_cmp_ne_u16_sdwa s[22:23], v29, v27 src0_sel:BYTE_0 src1_sel:DWORD
	s_or_b64 s[18:19], s[22:23], s[18:19]
	s_andn2_b64 exec, exec, s[18:19]
	s_cbranch_execnz .LBB21_65
; %bb.66:                               ;   in Loop: Header=BB21_62 Depth=1
	s_or_b64 exec, exec, s[18:19]
	s_branch .LBB21_61
.LBB21_67:                              ;   in Loop: Header=BB21_62 Depth=1
                                        ; implicit-def: $vgpr28
                                        ; implicit-def: $vgpr29
	s_cbranch_execz .LBB21_62
; %bb.68:
	s_and_saveexec_b64 s[16:17], s[4:5]
	s_cbranch_execz .LBB21_70
; %bb.69:
	s_add_i32 s2, s2, 64
	s_mov_b32 s3, 0
	s_lshl_b64 s[2:3], s[2:3], 3
	s_add_u32 s2, s8, s2
	v_mul_lo_u32 v24, v47, v24
	s_addc_u32 s3, s9, s3
	v_mov_b32_e32 v26, 0
	v_mov_b32_e32 v25, 2
	global_store_dwordx2 v26, v[24:25], s[2:3] sc1
.LBB21_70:
	s_or_b64 exec, exec, s[16:17]
	v_cmp_eq_u32_e32 vcc, 0, v0
	s_and_b64 exec, exec, vcc
	s_cbranch_execz .LBB21_72
; %bb.71:
	v_mov_b32_e32 v24, 0
	ds_write_b32 v24, v47 offset:12
.LBB21_72:
	s_or_b64 exec, exec, s[6:7]
	v_mov_b32_e32 v24, 0
	s_waitcnt lgkmcnt(0)
	s_barrier
	ds_read_b32 v24, v24 offset:12
	v_cndmask_b32_e64 v25, v38, v37, s[4:5]
	v_cmp_ne_u32_e32 vcc, 0, v0
	s_nop 1
	v_cndmask_b32_e32 v25, 1, v25, vcc
	v_mul_lo_u32 v25, v25, v20
	s_waitcnt lgkmcnt(0)
	v_mul_lo_u32 v24, v25, v24
	s_load_dwordx4 s[4:7], s[0:1], 0x30
	s_branch .LBB21_85
.LBB21_73:
                                        ; implicit-def: $vgpr24
	s_load_dwordx4 s[4:7], s[0:1], 0x30
	s_cbranch_execz .LBB21_85
; %bb.74:
	s_load_dword s2, s[0:1], 0x40
	v_cmp_eq_u32_e32 vcc, 0, v0
	s_waitcnt lgkmcnt(0)
	s_bitcmp1_b32 s2, 0
	s_cselect_b64 s[2:3], -1, 0
	s_and_b64 s[16:17], vcc, s[2:3]
	s_and_saveexec_b64 s[2:3], s[16:17]
	s_cbranch_execz .LBB21_76
; %bb.75:
	s_load_dword s4, s[4:5], 0x0
	s_waitcnt lgkmcnt(0)
	v_mul_lo_u32 v20, s4, v20
.LBB21_76:
	s_or_b64 exec, exec, s[2:3]
	v_mul_lo_u32 v24, v22, v21
	v_mul_lo_u32 v24, v24, v23
	;; [unrolled: 1-line block ×20, first 2 shown]
	v_mbcnt_hi_u32_b32 v24, -1, v36
	v_and_b32_e32 v26, 15, v24
	v_mov_b32_dpp v27, v25 row_shr:1 row_mask:0xf bank_mask:0xf
	v_cmp_ne_u32_e64 s[2:3], 0, v26
	s_nop 1
	v_cndmask_b32_e64 v27, 1, v27, s[2:3]
	v_mul_lo_u32 v25, v25, v27
	v_cmp_lt_u32_e64 s[2:3], 1, v26
	s_nop 0
	v_mov_b32_dpp v27, v25 row_shr:2 row_mask:0xf bank_mask:0xf
	v_cndmask_b32_e64 v27, 1, v27, s[2:3]
	v_mul_lo_u32 v25, v25, v27
	v_cmp_lt_u32_e64 s[2:3], 3, v26
	s_nop 0
	v_mov_b32_dpp v27, v25 row_shr:4 row_mask:0xf bank_mask:0xf
	;; [unrolled: 5-line block ×3, first 2 shown]
	v_cndmask_b32_e64 v26, 1, v27, s[2:3]
	v_mul_lo_u32 v25, v25, v26
	v_and_b32_e32 v27, 16, v24
	v_cmp_ne_u32_e64 s[2:3], 0, v27
	v_mov_b32_dpp v26, v25 row_bcast:15 row_mask:0xf bank_mask:0xf
	s_nop 0
	v_cndmask_b32_e64 v26, 1, v26, s[2:3]
	v_mul_lo_u32 v25, v25, v26
	v_cmp_lt_u32_e64 s[2:3], 31, v24
	s_nop 0
	v_mov_b32_dpp v26, v25 row_bcast:31 row_mask:0xf bank_mask:0xf
	v_cndmask_b32_e64 v26, 1, v26, s[2:3]
	v_mul_lo_u32 v25, v25, v26
	v_cmp_eq_u32_e64 s[2:3], v35, v0
	s_and_saveexec_b64 s[4:5], s[2:3]
	s_cbranch_execz .LBB21_78
; %bb.77:
	v_lshlrev_b32_e32 v26, 2, v3
	ds_write_b32 v26, v25
.LBB21_78:
	s_or_b64 exec, exec, s[4:5]
	v_cmp_gt_u32_e64 s[2:3], 4, v0
	s_waitcnt lgkmcnt(0)
	s_barrier
	s_and_saveexec_b64 s[4:5], s[2:3]
	s_cbranch_execz .LBB21_80
; %bb.79:
	ds_read_b32 v26, v2
	v_and_b32_e32 v27, 3, v24
	v_cmp_ne_u32_e64 s[2:3], 0, v27
	s_waitcnt lgkmcnt(0)
	v_mov_b32_dpp v28, v26 row_shr:1 row_mask:0xf bank_mask:0xf
	v_cndmask_b32_e64 v28, 1, v28, s[2:3]
	v_mul_lo_u32 v26, v28, v26
	v_cmp_lt_u32_e64 s[2:3], 1, v27
	s_nop 0
	v_mov_b32_dpp v28, v26 row_shr:2 row_mask:0xf bank_mask:0xf
	v_cndmask_b32_e64 v27, 1, v28, s[2:3]
	v_mul_lo_u32 v26, v26, v27
	ds_write_b32 v2, v26
.LBB21_80:
	s_or_b64 exec, exec, s[4:5]
	v_cmp_lt_u32_e64 s[2:3], 63, v0
	s_waitcnt lgkmcnt(0)
	s_barrier
	s_waitcnt lgkmcnt(0)
                                        ; implicit-def: $vgpr26
	s_and_saveexec_b64 s[4:5], s[2:3]
	s_cbranch_execz .LBB21_82
; %bb.81:
	v_lshl_add_u32 v3, v3, 2, -4
	ds_read_b32 v26, v3
	s_waitcnt lgkmcnt(0)
	v_mul_lo_u32 v25, v26, v25
.LBB21_82:
	s_or_b64 exec, exec, s[4:5]
	v_add_u32_e32 v3, -1, v24
	v_and_b32_e32 v27, 64, v24
	v_cmp_lt_i32_e64 s[2:3], v3, v27
	s_nop 1
	v_cndmask_b32_e64 v3, v3, v24, s[2:3]
	v_lshlrev_b32_e32 v3, 2, v3
	ds_bpermute_b32 v3, v3, v25
	v_cmp_eq_u32_e64 s[2:3], 0, v24
	s_waitcnt lgkmcnt(0)
	s_nop 0
	v_cndmask_b32_e64 v3, v3, v26, s[2:3]
	v_cndmask_b32_e64 v3, v3, 1, vcc
	s_and_saveexec_b64 s[2:3], vcc
	s_cbranch_execz .LBB21_84
; %bb.83:
	v_mov_b32_e32 v26, 0
	ds_read_b32 v24, v26 offset:12
	v_mov_b32_e32 v25, 2
	s_waitcnt lgkmcnt(0)
	global_store_dwordx2 v26, v[24:25], s[8:9] offset:512 sc1
.LBB21_84:
	s_or_b64 exec, exec, s[2:3]
	v_mul_lo_u32 v24, v3, v20
.LBB21_85:
	v_mul_lo_u32 v20, v24, v21
	v_mul_lo_u32 v21, v20, v22
	;; [unrolled: 1-line block ×19, first 2 shown]
	s_add_u32 s2, s10, s14
	v_mul_lo_u32 v1, v5, v1
	s_addc_u32 s3, s11, s15
	s_waitcnt lgkmcnt(0)
	s_mov_b64 s[4:5], -1
	s_and_b64 vcc, exec, s[12:13]
	s_barrier
	s_cbranch_vccz .LBB21_87
; %bb.86:
	v_mul_u32_u24_e32 v3, 0x54, v0
	s_movk_i32 s4, 0x54
	ds_write2_b32 v3, v24, v20 offset1:1
	ds_write2_b32 v3, v21, v22 offset0:2 offset1:3
	ds_write2_b32 v3, v18, v19 offset0:4 offset1:5
	;; [unrolled: 1-line block ×9, first 2 shown]
	ds_write_b32 v3, v1 offset:80
	v_mul_i32_i24_e32 v3, 0xffffffb0, v0
	v_mad_u32_u24 v3, v0, s4, v3
	s_waitcnt lgkmcnt(0)
	s_barrier
	ds_read2st64_b32 v[26:27], v3 offset1:4
	ds_read2st64_b32 v[28:29], v3 offset0:8 offset1:12
	ds_read2st64_b32 v[30:31], v3 offset0:16 offset1:20
	;; [unrolled: 1-line block ×9, first 2 shown]
	ds_read_b32 v23, v3 offset:20480
	v_mov_b32_e32 v3, 0
	v_lshl_add_u64 v[48:49], s[2:3], 0, v[2:3]
	s_movk_i32 s4, 0x1000
	s_waitcnt lgkmcnt(10)
	global_store_dword v2, v26, s[2:3]
	global_store_dword v2, v27, s[2:3] offset:1024
	s_waitcnt lgkmcnt(9)
	global_store_dword v2, v28, s[2:3] offset:2048
	global_store_dword v2, v29, s[2:3] offset:3072
	v_add_co_u32_e32 v26, vcc, s4, v48
	s_movk_i32 s4, 0x2000
	s_nop 0
	v_addc_co_u32_e32 v27, vcc, 0, v49, vcc
	v_add_co_u32_e32 v28, vcc, s4, v48
	s_movk_i32 s4, 0x3000
	s_nop 0
	v_addc_co_u32_e32 v29, vcc, 0, v49, vcc
	s_waitcnt lgkmcnt(8)
	global_store_dword v[28:29], v30, off offset:-4096
	global_store_dword v[26:27], v31, off offset:1024
	s_waitcnt lgkmcnt(7)
	global_store_dword v[26:27], v32, off offset:2048
	global_store_dword v[26:27], v33, off offset:3072
	s_waitcnt lgkmcnt(6)
	global_store_dword v[28:29], v36, off
	global_store_dword v[28:29], v37, off offset:1024
	s_waitcnt lgkmcnt(5)
	global_store_dword v[28:29], v38, off offset:2048
	global_store_dword v[28:29], v39, off offset:3072
	v_add_co_u32_e32 v26, vcc, s4, v48
	s_mov_b64 s[4:5], 0
	s_nop 0
	v_addc_co_u32_e32 v27, vcc, 0, v49, vcc
	s_waitcnt lgkmcnt(4)
	global_store_dword v[26:27], v40, off
	global_store_dword v[26:27], v41, off offset:1024
	s_waitcnt lgkmcnt(3)
	global_store_dword v[26:27], v42, off offset:2048
	global_store_dword v[26:27], v43, off offset:3072
	v_add_co_u32_e32 v26, vcc, 0x4000, v48
	s_nop 1
	v_addc_co_u32_e32 v27, vcc, 0, v49, vcc
	s_waitcnt lgkmcnt(2)
	global_store_dword v[26:27], v44, off
	global_store_dword v[26:27], v45, off offset:1024
	s_waitcnt lgkmcnt(1)
	global_store_dword v[26:27], v46, off offset:2048
	global_store_dword v[26:27], v47, off offset:3072
	v_add_co_u32_e32 v26, vcc, 0x5000, v48
	s_nop 1
	v_addc_co_u32_e32 v27, vcc, 0, v49, vcc
	s_waitcnt lgkmcnt(0)
	global_store_dword v[26:27], v23, off
.LBB21_87:
	s_andn2_b64 vcc, exec, s[4:5]
	s_cbranch_vccnz .LBB21_208
; %bb.88:
	v_mul_u32_u24_e32 v3, 0x54, v0
	s_movk_i32 s4, 0x54
	ds_write2_b32 v3, v24, v20 offset1:1
	ds_write2_b32 v3, v21, v22 offset0:2 offset1:3
	ds_write2_b32 v3, v18, v19 offset0:4 offset1:5
	;; [unrolled: 1-line block ×9, first 2 shown]
	ds_write_b32 v3, v1 offset:80
	v_mul_i32_i24_e32 v1, 0xffffffb0, v0
	v_mad_u32_u24 v1, v0, s4, v1
	s_waitcnt lgkmcnt(0)
	s_barrier
	ds_read2st64_b32 v[6:7], v1 offset1:4
	ds_read2st64_b32 v[8:9], v1 offset0:8 offset1:12
	ds_read2st64_b32 v[10:11], v1 offset0:16 offset1:20
	;; [unrolled: 1-line block ×9, first 2 shown]
	ds_read_b32 v26, v1 offset:20480
	v_mov_b32_e32 v3, 0
	v_lshl_add_u64 v[24:25], s[2:3], 0, v[2:3]
	v_cmp_gt_u32_e32 vcc, s20, v0
	s_and_saveexec_b64 s[2:3], vcc
	s_cbranch_execz .LBB21_90
; %bb.89:
	s_waitcnt lgkmcnt(10)
	global_store_dword v[24:25], v6, off
.LBB21_90:
	s_or_b64 exec, exec, s[2:3]
	v_or_b32_e32 v1, 0x100, v0
	v_cmp_gt_u32_e32 vcc, s20, v1
	s_and_saveexec_b64 s[2:3], vcc
	s_cbranch_execz .LBB21_92
; %bb.91:
	s_waitcnt lgkmcnt(10)
	global_store_dword v[24:25], v7, off offset:1024
.LBB21_92:
	s_or_b64 exec, exec, s[2:3]
	v_or_b32_e32 v1, 0x200, v0
	v_cmp_gt_u32_e32 vcc, s20, v1
	s_and_saveexec_b64 s[2:3], vcc
	s_cbranch_execz .LBB21_94
; %bb.93:
	s_waitcnt lgkmcnt(9)
	global_store_dword v[24:25], v8, off offset:2048
.LBB21_94:
	;; [unrolled: 9-line block ×3, first 2 shown]
	s_or_b64 exec, exec, s[2:3]
	v_or_b32_e32 v1, 0x400, v0
	v_cmp_gt_u32_e32 vcc, s20, v1
	s_and_saveexec_b64 s[2:3], vcc
	s_cbranch_execz .LBB21_98
; %bb.97:
	v_add_co_u32_e32 v28, vcc, 0x1000, v24
	s_nop 1
	v_addc_co_u32_e32 v29, vcc, 0, v25, vcc
	s_waitcnt lgkmcnt(8)
	global_store_dword v[28:29], v10, off
.LBB21_98:
	s_or_b64 exec, exec, s[2:3]
	v_or_b32_e32 v1, 0x500, v0
	v_cmp_gt_u32_e32 vcc, s20, v1
	s_and_saveexec_b64 s[2:3], vcc
	s_cbranch_execz .LBB21_100
; %bb.99:
	v_add_co_u32_e32 v28, vcc, 0x1000, v24
	s_nop 1
	v_addc_co_u32_e32 v29, vcc, 0, v25, vcc
	s_waitcnt lgkmcnt(8)
	global_store_dword v[28:29], v11, off offset:1024
.LBB21_100:
	s_or_b64 exec, exec, s[2:3]
	v_or_b32_e32 v1, 0x600, v0
	v_cmp_gt_u32_e32 vcc, s20, v1
	s_and_saveexec_b64 s[2:3], vcc
	s_cbranch_execz .LBB21_102
; %bb.101:
	v_add_co_u32_e32 v28, vcc, 0x1000, v24
	s_nop 1
	v_addc_co_u32_e32 v29, vcc, 0, v25, vcc
	s_waitcnt lgkmcnt(7)
	global_store_dword v[28:29], v16, off offset:2048
.LBB21_102:
	s_or_b64 exec, exec, s[2:3]
	v_or_b32_e32 v1, 0x700, v0
	v_cmp_gt_u32_e32 vcc, s20, v1
	s_and_saveexec_b64 s[2:3], vcc
	s_cbranch_execz .LBB21_104
; %bb.103:
	v_add_co_u32_e32 v28, vcc, 0x1000, v24
	s_nop 1
	v_addc_co_u32_e32 v29, vcc, 0, v25, vcc
	s_waitcnt lgkmcnt(7)
	global_store_dword v[28:29], v17, off offset:3072
.LBB21_104:
	s_or_b64 exec, exec, s[2:3]
	v_or_b32_e32 v1, 0x800, v0
	v_cmp_gt_u32_e32 vcc, s20, v1
	s_and_saveexec_b64 s[2:3], vcc
	s_cbranch_execz .LBB21_106
; %bb.105:
	v_add_co_u32_e32 v28, vcc, 0x2000, v24
	s_nop 1
	v_addc_co_u32_e32 v29, vcc, 0, v25, vcc
	s_waitcnt lgkmcnt(6)
	global_store_dword v[28:29], v12, off
.LBB21_106:
	s_or_b64 exec, exec, s[2:3]
	v_or_b32_e32 v1, 0x900, v0
	v_cmp_gt_u32_e32 vcc, s20, v1
	s_and_saveexec_b64 s[2:3], vcc
	s_cbranch_execz .LBB21_108
; %bb.107:
	v_add_co_u32_e32 v28, vcc, 0x2000, v24
	s_nop 1
	v_addc_co_u32_e32 v29, vcc, 0, v25, vcc
	s_waitcnt lgkmcnt(6)
	global_store_dword v[28:29], v13, off offset:1024
.LBB21_108:
	s_or_b64 exec, exec, s[2:3]
	v_or_b32_e32 v1, 0xa00, v0
	v_cmp_gt_u32_e32 vcc, s20, v1
	s_and_saveexec_b64 s[2:3], vcc
	s_cbranch_execz .LBB21_110
; %bb.109:
	v_add_co_u32_e32 v28, vcc, 0x2000, v24
	s_nop 1
	v_addc_co_u32_e32 v29, vcc, 0, v25, vcc
	s_waitcnt lgkmcnt(5)
	global_store_dword v[28:29], v4, off offset:2048
.LBB21_110:
	s_or_b64 exec, exec, s[2:3]
	v_or_b32_e32 v1, 0xb00, v0
	v_cmp_gt_u32_e32 vcc, s20, v1
	s_and_saveexec_b64 s[2:3], vcc
	s_cbranch_execz .LBB21_112
; %bb.111:
	v_add_co_u32_e32 v28, vcc, 0x2000, v24
	s_nop 1
	v_addc_co_u32_e32 v29, vcc, 0, v25, vcc
	s_waitcnt lgkmcnt(5)
	global_store_dword v[28:29], v5, off offset:3072
.LBB21_112:
	;; [unrolled: 48-line block ×4, first 2 shown]
	s_or_b64 exec, exec, s[2:3]
	v_or_b32_e32 v1, 0x1400, v0
	v_cmp_gt_u32_e32 vcc, s20, v1
	s_and_saveexec_b64 s[2:3], vcc
	s_cbranch_execz .LBB21_130
; %bb.129:
	v_add_co_u32_e32 v24, vcc, 0x5000, v24
	s_nop 1
	v_addc_co_u32_e32 v25, vcc, 0, v25, vcc
	s_waitcnt lgkmcnt(0)
	global_store_dword v[24:25], v26, off
.LBB21_130:
	s_or_b64 exec, exec, s[2:3]
	s_load_dword s0, s[0:1], 0x40
	s_waitcnt lgkmcnt(0)
	s_bfe_u32 s0, s0, 0x10008
	s_cmp_eq_u32 s0, 0
	s_cbranch_scc1 .LBB21_208
; %bb.131:
	s_add_u32 s0, s20, -1
	s_addc_u32 s1, s21, -1
	s_add_u32 s2, 0, 0x30c26c00
	s_addc_u32 s3, 0, 44
	s_add_i32 s3, s3, 0xc30c2e0
	s_mul_hi_u32 s9, s2, 0xffffffeb
	s_sub_i32 s9, s9, s2
	s_mul_i32 s10, s3, 0xffffffeb
	s_mul_i32 s4, s2, 0xffffffeb
	s_add_i32 s9, s9, s10
	s_mul_hi_u32 s5, s3, s4
	s_mul_i32 s8, s3, s4
	s_mul_i32 s11, s2, s9
	s_mul_hi_u32 s4, s2, s4
	s_mul_hi_u32 s10, s2, s9
	s_add_u32 s4, s4, s11
	s_addc_u32 s10, 0, s10
	s_add_u32 s4, s4, s8
	s_mul_hi_u32 s11, s3, s9
	s_addc_u32 s4, s10, s5
	s_addc_u32 s5, s11, 0
	s_mul_i32 s8, s3, s9
	s_add_u32 s4, s4, s8
	v_mov_b32_e32 v2, s4
	s_addc_u32 s5, 0, s5
	v_add_co_u32_e32 v2, vcc, s2, v2
	s_cmp_lg_u64 vcc, 0
	s_addc_u32 s2, s3, s5
	v_readfirstlane_b32 s5, v2
	s_mul_i32 s4, s0, s2
	s_mul_hi_u32 s8, s0, s5
	s_mul_hi_u32 s3, s0, s2
	s_add_u32 s4, s8, s4
	s_addc_u32 s3, 0, s3
	s_mul_hi_u32 s9, s1, s5
	s_mul_i32 s5, s1, s5
	s_add_u32 s4, s4, s5
	s_mul_hi_u32 s8, s1, s2
	s_addc_u32 s3, s3, s9
	s_addc_u32 s4, s8, 0
	s_mul_i32 s2, s1, s2
	s_add_u32 s2, s3, s2
	s_addc_u32 s3, 0, s4
	s_add_u32 s4, s2, 1
	s_addc_u32 s5, s3, 0
	s_add_u32 s8, s2, 2
	s_mul_i32 s10, s3, 21
	s_mul_hi_u32 s11, s2, 21
	s_addc_u32 s9, s3, 0
	s_add_i32 s11, s11, s10
	s_mul_i32 s10, s2, 21
	v_mov_b32_e32 v2, s10
	v_sub_co_u32_e32 v2, vcc, s0, v2
	s_cmp_lg_u64 vcc, 0
	v_mov_b32_e32 v1, v3
	s_subb_u32 s10, s1, s11
	v_subrev_co_u32_e32 v3, vcc, 21, v2
	s_cmp_lg_u64 vcc, 0
	s_subb_u32 s11, s10, 0
	v_readfirstlane_b32 s12, v3
	s_cmp_gt_u32 s12, 20
	s_cselect_b32 s12, -1, 0
	s_cmp_eq_u32 s11, 0
	s_cselect_b32 s11, s12, -1
	s_cmp_lg_u32 s11, 0
	s_cselect_b32 s4, s8, s4
	v_readfirstlane_b32 s8, v2
	s_cselect_b32 s5, s9, s5
	s_cmp_gt_u32 s8, 20
	s_cselect_b32 s8, -1, 0
	s_cmp_eq_u32 s10, 0
	s_cselect_b32 s8, s8, -1
	s_cmp_lg_u32 s8, 0
	s_cselect_b32 s3, s5, s3
	s_cselect_b32 s2, s4, s2
	v_cmp_eq_u64_e32 vcc, s[2:3], v[0:1]
	s_and_saveexec_b64 s[2:3], vcc
	s_cbranch_execz .LBB21_208
; %bb.132:
	v_mul_hi_u32_u24_e32 v1, 21, v0
	v_mov_b32_e32 v2, s1
	v_sub_co_u32_e32 v0, vcc, s0, v34
	s_nop 1
	v_subb_co_u32_e32 v1, vcc, v2, v1, vcc
	v_cmp_lt_i64_e32 vcc, 10, v[0:1]
	s_and_saveexec_b64 s[0:1], vcc
	s_xor_b64 s[0:1], exec, s[0:1]
	s_cbranch_execz .LBB21_170
; %bb.133:
	v_cmp_lt_i64_e32 vcc, 15, v[0:1]
	s_and_saveexec_b64 s[2:3], vcc
	s_xor_b64 s[2:3], exec, s[2:3]
	s_cbranch_execz .LBB21_151
; %bb.134:
	;; [unrolled: 5-line block ×5, first 2 shown]
	v_mov_b32_e32 v0, 0
	global_store_dword v0, v26, s[6:7]
                                        ; implicit-def: $vgpr20_vgpr21
.LBB21_138:
	s_andn2_saveexec_b64 s[10:11], s[10:11]
	s_cbranch_execz .LBB21_140
; %bb.139:
	v_mov_b32_e32 v0, 0
	global_store_dword v0, v21, s[6:7]
.LBB21_140:
	s_or_b64 exec, exec, s[10:11]
                                        ; implicit-def: $vgpr20_vgpr21
.LBB21_141:
	s_andn2_saveexec_b64 s[8:9], s[8:9]
	s_cbranch_execz .LBB21_143
; %bb.142:
	v_mov_b32_e32 v0, 0
	global_store_dword v0, v20, s[6:7]
.LBB21_143:
	s_or_b64 exec, exec, s[8:9]
                                        ; implicit-def: $vgpr22_vgpr23
                                        ; implicit-def: $vgpr0_vgpr1
.LBB21_144:
	s_andn2_saveexec_b64 s[4:5], s[4:5]
	s_cbranch_execz .LBB21_150
; %bb.145:
	v_cmp_lt_i64_e32 vcc, 16, v[0:1]
	s_and_saveexec_b64 s[8:9], vcc
	s_xor_b64 s[8:9], exec, s[8:9]
	s_cbranch_execz .LBB21_147
; %bb.146:
	v_mov_b32_e32 v0, 0
	global_store_dword v0, v23, s[6:7]
                                        ; implicit-def: $vgpr22_vgpr23
.LBB21_147:
	s_andn2_saveexec_b64 s[8:9], s[8:9]
	s_cbranch_execz .LBB21_149
; %bb.148:
	v_mov_b32_e32 v0, 0
	global_store_dword v0, v22, s[6:7]
.LBB21_149:
	s_or_b64 exec, exec, s[8:9]
.LBB21_150:
	s_or_b64 exec, exec, s[4:5]
                                        ; implicit-def: $vgpr0_vgpr1
                                        ; implicit-def: $vgpr4_vgpr5
                                        ; implicit-def: $vgpr14_vgpr15
                                        ; implicit-def: $vgpr18_vgpr19
.LBB21_151:
	s_andn2_saveexec_b64 s[2:3], s[2:3]
	s_cbranch_execz .LBB21_169
; %bb.152:
	v_cmp_lt_i64_e32 vcc, 12, v[0:1]
	s_and_saveexec_b64 s[4:5], vcc
	s_xor_b64 s[4:5], exec, s[4:5]
	s_cbranch_execz .LBB21_162
; %bb.153:
	v_cmp_lt_i64_e32 vcc, 13, v[0:1]
	s_and_saveexec_b64 s[8:9], vcc
	s_xor_b64 s[8:9], exec, s[8:9]
	;; [unrolled: 5-line block ×3, first 2 shown]
	s_cbranch_execz .LBB21_156
; %bb.155:
	v_mov_b32_e32 v0, 0
	global_store_dword v0, v19, s[6:7]
                                        ; implicit-def: $vgpr18_vgpr19
.LBB21_156:
	s_andn2_saveexec_b64 s[10:11], s[10:11]
	s_cbranch_execz .LBB21_158
; %bb.157:
	v_mov_b32_e32 v0, 0
	global_store_dword v0, v18, s[6:7]
.LBB21_158:
	s_or_b64 exec, exec, s[10:11]
                                        ; implicit-def: $vgpr14_vgpr15
.LBB21_159:
	s_andn2_saveexec_b64 s[8:9], s[8:9]
	s_cbranch_execz .LBB21_161
; %bb.160:
	v_mov_b32_e32 v0, 0
	global_store_dword v0, v15, s[6:7]
.LBB21_161:
	s_or_b64 exec, exec, s[8:9]
                                        ; implicit-def: $vgpr4_vgpr5
                                        ; implicit-def: $vgpr0_vgpr1
                                        ; implicit-def: $vgpr14_vgpr15
.LBB21_162:
	s_andn2_saveexec_b64 s[4:5], s[4:5]
	s_cbranch_execz .LBB21_168
; %bb.163:
	v_cmp_lt_i64_e32 vcc, 11, v[0:1]
	s_and_saveexec_b64 s[8:9], vcc
	s_xor_b64 s[8:9], exec, s[8:9]
	s_cbranch_execz .LBB21_165
; %bb.164:
	v_mov_b32_e32 v0, 0
	global_store_dword v0, v14, s[6:7]
                                        ; implicit-def: $vgpr4_vgpr5
.LBB21_165:
	s_andn2_saveexec_b64 s[8:9], s[8:9]
	s_cbranch_execz .LBB21_167
; %bb.166:
	v_mov_b32_e32 v0, 0
	global_store_dword v0, v5, s[6:7]
.LBB21_167:
	s_or_b64 exec, exec, s[8:9]
.LBB21_168:
	s_or_b64 exec, exec, s[4:5]
.LBB21_169:
	s_or_b64 exec, exec, s[2:3]
                                        ; implicit-def: $vgpr0_vgpr1
                                        ; implicit-def: $vgpr16_vgpr17
                                        ; implicit-def: $vgpr8_vgpr9
                                        ; implicit-def: $vgpr6_vgpr7
                                        ; implicit-def: $vgpr12_vgpr13
                                        ; implicit-def: $vgpr10_vgpr11
                                        ; implicit-def: $vgpr4_vgpr5
.LBB21_170:
	s_andn2_saveexec_b64 s[0:1], s[0:1]
	s_cbranch_execz .LBB21_208
; %bb.171:
	v_cmp_lt_i64_e32 vcc, 5, v[0:1]
	s_and_saveexec_b64 s[0:1], vcc
	s_xor_b64 s[0:1], exec, s[0:1]
	s_cbranch_execz .LBB21_189
; %bb.172:
	v_cmp_lt_i64_e32 vcc, 7, v[0:1]
	s_and_saveexec_b64 s[2:3], vcc
	s_xor_b64 s[2:3], exec, s[2:3]
	;; [unrolled: 5-line block ×4, first 2 shown]
	s_cbranch_execz .LBB21_176
; %bb.175:
	v_mov_b32_e32 v0, 0
	global_store_dword v0, v4, s[6:7]
                                        ; implicit-def: $vgpr12_vgpr13
.LBB21_176:
	s_andn2_saveexec_b64 s[8:9], s[8:9]
	s_cbranch_execz .LBB21_178
; %bb.177:
	v_mov_b32_e32 v0, 0
	global_store_dword v0, v13, s[6:7]
.LBB21_178:
	s_or_b64 exec, exec, s[8:9]
                                        ; implicit-def: $vgpr12_vgpr13
.LBB21_179:
	s_andn2_saveexec_b64 s[4:5], s[4:5]
	s_cbranch_execz .LBB21_181
; %bb.180:
	v_mov_b32_e32 v0, 0
	global_store_dword v0, v12, s[6:7]
.LBB21_181:
	s_or_b64 exec, exec, s[4:5]
                                        ; implicit-def: $vgpr16_vgpr17
                                        ; implicit-def: $vgpr0_vgpr1
.LBB21_182:
	s_andn2_saveexec_b64 s[2:3], s[2:3]
	s_cbranch_execz .LBB21_188
; %bb.183:
	v_cmp_lt_i64_e32 vcc, 6, v[0:1]
	s_and_saveexec_b64 s[4:5], vcc
	s_xor_b64 s[4:5], exec, s[4:5]
	s_cbranch_execz .LBB21_185
; %bb.184:
	v_mov_b32_e32 v0, 0
	global_store_dword v0, v17, s[6:7]
                                        ; implicit-def: $vgpr16_vgpr17
.LBB21_185:
	s_andn2_saveexec_b64 s[4:5], s[4:5]
	s_cbranch_execz .LBB21_187
; %bb.186:
	v_mov_b32_e32 v0, 0
	global_store_dword v0, v16, s[6:7]
.LBB21_187:
	s_or_b64 exec, exec, s[4:5]
.LBB21_188:
	s_or_b64 exec, exec, s[2:3]
                                        ; implicit-def: $vgpr0_vgpr1
                                        ; implicit-def: $vgpr8_vgpr9
                                        ; implicit-def: $vgpr6_vgpr7
                                        ; implicit-def: $vgpr10_vgpr11
.LBB21_189:
	s_andn2_saveexec_b64 s[0:1], s[0:1]
	s_cbranch_execz .LBB21_208
; %bb.190:
	v_cmp_lt_i64_e32 vcc, 2, v[0:1]
	s_and_saveexec_b64 s[0:1], vcc
	s_xor_b64 s[0:1], exec, s[0:1]
	s_cbranch_execz .LBB21_200
; %bb.191:
	v_cmp_lt_i64_e32 vcc, 3, v[0:1]
	s_and_saveexec_b64 s[2:3], vcc
	s_xor_b64 s[2:3], exec, s[2:3]
	s_cbranch_execz .LBB21_197
; %bb.192:
	v_cmp_lt_i64_e32 vcc, 4, v[0:1]
	s_and_saveexec_b64 s[4:5], vcc
	s_xor_b64 s[4:5], exec, s[4:5]
	s_cbranch_execz .LBB21_194
; %bb.193:
	v_mov_b32_e32 v0, 0
	global_store_dword v0, v11, s[6:7]
                                        ; implicit-def: $vgpr10_vgpr11
.LBB21_194:
	s_andn2_saveexec_b64 s[4:5], s[4:5]
	s_cbranch_execz .LBB21_196
; %bb.195:
	v_mov_b32_e32 v0, 0
	global_store_dword v0, v10, s[6:7]
.LBB21_196:
	s_or_b64 exec, exec, s[4:5]
                                        ; implicit-def: $vgpr8_vgpr9
.LBB21_197:
	s_andn2_saveexec_b64 s[2:3], s[2:3]
	s_cbranch_execz .LBB21_199
; %bb.198:
	v_mov_b32_e32 v0, 0
	global_store_dword v0, v9, s[6:7]
.LBB21_199:
	s_or_b64 exec, exec, s[2:3]
                                        ; implicit-def: $vgpr0_vgpr1
                                        ; implicit-def: $vgpr8_vgpr9
                                        ; implicit-def: $vgpr6_vgpr7
.LBB21_200:
	s_andn2_saveexec_b64 s[0:1], s[0:1]
	s_cbranch_execz .LBB21_208
; %bb.201:
	v_cmp_lt_i64_e32 vcc, 1, v[0:1]
	s_and_saveexec_b64 s[0:1], vcc
	s_xor_b64 s[0:1], exec, s[0:1]
	s_cbranch_execz .LBB21_203
; %bb.202:
	v_mov_b32_e32 v0, 0
	global_store_dword v0, v8, s[6:7]
                                        ; implicit-def: $vgpr6_vgpr7
                                        ; implicit-def: $vgpr0_vgpr1
.LBB21_203:
	s_andn2_saveexec_b64 s[0:1], s[0:1]
	s_cbranch_execz .LBB21_208
; %bb.204:
	v_cmp_ne_u64_e32 vcc, 1, v[0:1]
	s_and_saveexec_b64 s[0:1], vcc
	s_xor_b64 s[0:1], exec, s[0:1]
	s_cbranch_execz .LBB21_206
; %bb.205:
	v_mov_b32_e32 v0, 0
	global_store_dword v0, v6, s[6:7]
                                        ; implicit-def: $vgpr6_vgpr7
.LBB21_206:
	s_andn2_saveexec_b64 s[0:1], s[0:1]
	s_cbranch_execz .LBB21_208
; %bb.207:
	v_mov_b32_e32 v0, 0
	global_store_dword v0, v7, s[6:7]
.LBB21_208:
	s_endpgm
	.section	.rodata,"a",@progbits
	.p2align	6, 0x0
	.amdhsa_kernel _ZN7rocprim17ROCPRIM_304000_NS6detail20lookback_scan_kernelILNS1_25lookback_scan_determinismE0ELb0ENS1_19wrapped_scan_configINS0_14default_configEiEEPKiPiSt10multipliesIiEiiNS1_19lookback_scan_stateIiLb0ELb1EEEEEvT2_T3_mT5_T4_T7_jPT6_SK_bb
		.amdhsa_group_segment_fixed_size 21504
		.amdhsa_private_segment_fixed_size 0
		.amdhsa_kernarg_size 68
		.amdhsa_user_sgpr_count 2
		.amdhsa_user_sgpr_dispatch_ptr 0
		.amdhsa_user_sgpr_queue_ptr 0
		.amdhsa_user_sgpr_kernarg_segment_ptr 1
		.amdhsa_user_sgpr_dispatch_id 0
		.amdhsa_user_sgpr_kernarg_preload_length 0
		.amdhsa_user_sgpr_kernarg_preload_offset 0
		.amdhsa_user_sgpr_private_segment_size 0
		.amdhsa_uses_dynamic_stack 0
		.amdhsa_enable_private_segment 0
		.amdhsa_system_sgpr_workgroup_id_x 1
		.amdhsa_system_sgpr_workgroup_id_y 0
		.amdhsa_system_sgpr_workgroup_id_z 0
		.amdhsa_system_sgpr_workgroup_info 0
		.amdhsa_system_vgpr_workitem_id 0
		.amdhsa_next_free_vgpr 53
		.amdhsa_next_free_sgpr 24
		.amdhsa_accum_offset 56
		.amdhsa_reserve_vcc 1
		.amdhsa_float_round_mode_32 0
		.amdhsa_float_round_mode_16_64 0
		.amdhsa_float_denorm_mode_32 3
		.amdhsa_float_denorm_mode_16_64 3
		.amdhsa_dx10_clamp 1
		.amdhsa_ieee_mode 1
		.amdhsa_fp16_overflow 0
		.amdhsa_tg_split 0
		.amdhsa_exception_fp_ieee_invalid_op 0
		.amdhsa_exception_fp_denorm_src 0
		.amdhsa_exception_fp_ieee_div_zero 0
		.amdhsa_exception_fp_ieee_overflow 0
		.amdhsa_exception_fp_ieee_underflow 0
		.amdhsa_exception_fp_ieee_inexact 0
		.amdhsa_exception_int_div_zero 0
	.end_amdhsa_kernel
	.section	.text._ZN7rocprim17ROCPRIM_304000_NS6detail20lookback_scan_kernelILNS1_25lookback_scan_determinismE0ELb0ENS1_19wrapped_scan_configINS0_14default_configEiEEPKiPiSt10multipliesIiEiiNS1_19lookback_scan_stateIiLb0ELb1EEEEEvT2_T3_mT5_T4_T7_jPT6_SK_bb,"axG",@progbits,_ZN7rocprim17ROCPRIM_304000_NS6detail20lookback_scan_kernelILNS1_25lookback_scan_determinismE0ELb0ENS1_19wrapped_scan_configINS0_14default_configEiEEPKiPiSt10multipliesIiEiiNS1_19lookback_scan_stateIiLb0ELb1EEEEEvT2_T3_mT5_T4_T7_jPT6_SK_bb,comdat
.Lfunc_end21:
	.size	_ZN7rocprim17ROCPRIM_304000_NS6detail20lookback_scan_kernelILNS1_25lookback_scan_determinismE0ELb0ENS1_19wrapped_scan_configINS0_14default_configEiEEPKiPiSt10multipliesIiEiiNS1_19lookback_scan_stateIiLb0ELb1EEEEEvT2_T3_mT5_T4_T7_jPT6_SK_bb, .Lfunc_end21-_ZN7rocprim17ROCPRIM_304000_NS6detail20lookback_scan_kernelILNS1_25lookback_scan_determinismE0ELb0ENS1_19wrapped_scan_configINS0_14default_configEiEEPKiPiSt10multipliesIiEiiNS1_19lookback_scan_stateIiLb0ELb1EEEEEvT2_T3_mT5_T4_T7_jPT6_SK_bb
                                        ; -- End function
	.section	.AMDGPU.csdata,"",@progbits
; Kernel info:
; codeLenInByte = 7416
; NumSgprs: 30
; NumVgprs: 53
; NumAgprs: 0
; TotalNumVgprs: 53
; ScratchSize: 0
; MemoryBound: 0
; FloatMode: 240
; IeeeMode: 1
; LDSByteSize: 21504 bytes/workgroup (compile time only)
; SGPRBlocks: 3
; VGPRBlocks: 6
; NumSGPRsForWavesPerEU: 30
; NumVGPRsForWavesPerEU: 53
; AccumOffset: 56
; Occupancy: 3
; WaveLimiterHint : 1
; COMPUTE_PGM_RSRC2:SCRATCH_EN: 0
; COMPUTE_PGM_RSRC2:USER_SGPR: 2
; COMPUTE_PGM_RSRC2:TRAP_HANDLER: 0
; COMPUTE_PGM_RSRC2:TGID_X_EN: 1
; COMPUTE_PGM_RSRC2:TGID_Y_EN: 0
; COMPUTE_PGM_RSRC2:TGID_Z_EN: 0
; COMPUTE_PGM_RSRC2:TIDIG_COMP_CNT: 0
; COMPUTE_PGM_RSRC3_GFX90A:ACCUM_OFFSET: 13
; COMPUTE_PGM_RSRC3_GFX90A:TG_SPLIT: 0
	.section	.text._ZN7rocprim17ROCPRIM_304000_NS6detail16transform_kernelINS1_24wrapped_transform_configINS0_14default_configEiEEiPiS6_NS0_8identityIiEEEEvT1_mT2_T3_,"axG",@progbits,_ZN7rocprim17ROCPRIM_304000_NS6detail16transform_kernelINS1_24wrapped_transform_configINS0_14default_configEiEEiPiS6_NS0_8identityIiEEEEvT1_mT2_T3_,comdat
	.protected	_ZN7rocprim17ROCPRIM_304000_NS6detail16transform_kernelINS1_24wrapped_transform_configINS0_14default_configEiEEiPiS6_NS0_8identityIiEEEEvT1_mT2_T3_ ; -- Begin function _ZN7rocprim17ROCPRIM_304000_NS6detail16transform_kernelINS1_24wrapped_transform_configINS0_14default_configEiEEiPiS6_NS0_8identityIiEEEEvT1_mT2_T3_
	.globl	_ZN7rocprim17ROCPRIM_304000_NS6detail16transform_kernelINS1_24wrapped_transform_configINS0_14default_configEiEEiPiS6_NS0_8identityIiEEEEvT1_mT2_T3_
	.p2align	8
	.type	_ZN7rocprim17ROCPRIM_304000_NS6detail16transform_kernelINS1_24wrapped_transform_configINS0_14default_configEiEEiPiS6_NS0_8identityIiEEEEvT1_mT2_T3_,@function
_ZN7rocprim17ROCPRIM_304000_NS6detail16transform_kernelINS1_24wrapped_transform_configINS0_14default_configEiEEiPiS6_NS0_8identityIiEEEEvT1_mT2_T3_: ; @_ZN7rocprim17ROCPRIM_304000_NS6detail16transform_kernelINS1_24wrapped_transform_configINS0_14default_configEiEEiPiS6_NS0_8identityIiEEEEvT1_mT2_T3_
; %bb.0:
	s_load_dword s3, s[0:1], 0x20
	s_load_dwordx4 s[4:7], s[0:1], 0x0
	s_load_dwordx2 s[8:9], s[0:1], 0x10
	s_lshl_b32 s0, s2, 10
	s_mov_b32 s1, 0
	s_waitcnt lgkmcnt(0)
	s_add_i32 s3, s3, -1
	s_lshl_b64 s[10:11], s[0:1], 2
	s_add_u32 s4, s4, s10
	s_addc_u32 s5, s5, s11
	v_mov_b32_e32 v7, 0
	v_lshlrev_b32_e32 v6, 2, v0
	s_cmp_lg_u32 s2, s3
	v_lshl_add_u64 v[8:9], s[4:5], 0, v[6:7]
	s_cbranch_scc0 .LBB22_2
; %bb.1:
	global_load_dword v2, v[8:9], off
	global_load_dword v3, v[8:9], off offset:1024
	global_load_dword v4, v[8:9], off offset:2048
	;; [unrolled: 1-line block ×3, first 2 shown]
	s_add_u32 s4, s8, s10
	s_addc_u32 s5, s9, s11
	s_mov_b64 s[12:13], -1
	s_waitcnt vmcnt(3)
	global_store_dword v6, v2, s[4:5]
	s_waitcnt vmcnt(3)
	global_store_dword v6, v3, s[4:5] offset:1024
	s_waitcnt vmcnt(3)
	global_store_dword v6, v4, s[4:5] offset:2048
	s_cbranch_execz .LBB22_3
	s_branch .LBB22_17
.LBB22_2:
	s_mov_b64 s[12:13], 0
                                        ; implicit-def: $vgpr1
.LBB22_3:
	s_sub_i32 s6, s6, s0
	v_cmp_gt_u32_e32 vcc, s6, v0
                                        ; implicit-def: $vgpr2_vgpr3_vgpr4_vgpr5
	s_and_saveexec_b64 s[0:1], vcc
	s_cbranch_execz .LBB22_5
; %bb.4:
	global_load_dword v2, v[8:9], off
.LBB22_5:
	s_or_b64 exec, exec, s[0:1]
	s_waitcnt vmcnt(3)
	v_or_b32_e32 v1, 0x100, v0
	v_cmp_gt_u32_e64 s[0:1], s6, v1
	s_and_saveexec_b64 s[2:3], s[0:1]
	s_cbranch_execz .LBB22_7
; %bb.6:
	global_load_dword v3, v[8:9], off offset:1024
.LBB22_7:
	s_or_b64 exec, exec, s[2:3]
	v_or_b32_e32 v1, 0x200, v0
	v_cmp_gt_u32_e64 s[2:3], s6, v1
	s_and_saveexec_b64 s[4:5], s[2:3]
	s_cbranch_execz .LBB22_9
; %bb.8:
	global_load_dword v4, v[8:9], off offset:2048
.LBB22_9:
	s_or_b64 exec, exec, s[4:5]
	;; [unrolled: 8-line block ×3, first 2 shown]
	s_add_u32 s6, s8, s10
	s_addc_u32 s7, s9, s11
	v_mov_b32_e32 v7, 0
	v_lshl_add_u64 v[0:1], s[6:7], 0, v[6:7]
	s_and_saveexec_b64 s[6:7], vcc
	s_cbranch_execnz .LBB22_20
; %bb.12:
	s_or_b64 exec, exec, s[6:7]
	s_and_saveexec_b64 s[6:7], s[0:1]
	s_cbranch_execnz .LBB22_21
.LBB22_13:
	s_or_b64 exec, exec, s[6:7]
	s_and_saveexec_b64 s[0:1], s[2:3]
	s_cbranch_execnz .LBB22_22
.LBB22_14:
	s_or_b64 exec, exec, s[0:1]
                                        ; implicit-def: $vgpr1
	s_and_saveexec_b64 s[0:1], s[4:5]
	s_cbranch_execz .LBB22_16
.LBB22_15:
	s_waitcnt vmcnt(0)
	v_cndmask_b32_e64 v1, v5, v5, s[4:5]
	s_or_b64 s[12:13], s[12:13], exec
.LBB22_16:
	s_or_b64 exec, exec, s[0:1]
.LBB22_17:
	s_and_saveexec_b64 s[0:1], s[12:13]
	s_cbranch_execnz .LBB22_19
; %bb.18:
	s_endpgm
.LBB22_19:
	s_add_u32 s0, s8, s10
	s_addc_u32 s1, s9, s11
	s_waitcnt vmcnt(3)
	global_store_dword v6, v1, s[0:1] offset:3072
	s_endpgm
.LBB22_20:
	s_waitcnt vmcnt(0)
	global_store_dword v[0:1], v2, off
	s_or_b64 exec, exec, s[6:7]
	s_and_saveexec_b64 s[6:7], s[0:1]
	s_cbranch_execz .LBB22_13
.LBB22_21:
	s_waitcnt vmcnt(0)
	global_store_dword v[0:1], v3, off offset:1024
	s_or_b64 exec, exec, s[6:7]
	s_and_saveexec_b64 s[0:1], s[2:3]
	s_cbranch_execz .LBB22_14
.LBB22_22:
	s_waitcnt vmcnt(0)
	v_cndmask_b32_e64 v2, v4, v4, s[2:3]
	global_store_dword v[0:1], v2, off offset:2048
	s_or_b64 exec, exec, s[0:1]
                                        ; implicit-def: $vgpr1
	s_and_saveexec_b64 s[0:1], s[4:5]
	s_cbranch_execnz .LBB22_15
	s_branch .LBB22_16
	.section	.rodata,"a",@progbits
	.p2align	6, 0x0
	.amdhsa_kernel _ZN7rocprim17ROCPRIM_304000_NS6detail16transform_kernelINS1_24wrapped_transform_configINS0_14default_configEiEEiPiS6_NS0_8identityIiEEEEvT1_mT2_T3_
		.amdhsa_group_segment_fixed_size 0
		.amdhsa_private_segment_fixed_size 0
		.amdhsa_kernarg_size 288
		.amdhsa_user_sgpr_count 2
		.amdhsa_user_sgpr_dispatch_ptr 0
		.amdhsa_user_sgpr_queue_ptr 0
		.amdhsa_user_sgpr_kernarg_segment_ptr 1
		.amdhsa_user_sgpr_dispatch_id 0
		.amdhsa_user_sgpr_kernarg_preload_length 0
		.amdhsa_user_sgpr_kernarg_preload_offset 0
		.amdhsa_user_sgpr_private_segment_size 0
		.amdhsa_uses_dynamic_stack 0
		.amdhsa_enable_private_segment 0
		.amdhsa_system_sgpr_workgroup_id_x 1
		.amdhsa_system_sgpr_workgroup_id_y 0
		.amdhsa_system_sgpr_workgroup_id_z 0
		.amdhsa_system_sgpr_workgroup_info 0
		.amdhsa_system_vgpr_workitem_id 0
		.amdhsa_next_free_vgpr 10
		.amdhsa_next_free_sgpr 14
		.amdhsa_accum_offset 12
		.amdhsa_reserve_vcc 1
		.amdhsa_float_round_mode_32 0
		.amdhsa_float_round_mode_16_64 0
		.amdhsa_float_denorm_mode_32 3
		.amdhsa_float_denorm_mode_16_64 3
		.amdhsa_dx10_clamp 1
		.amdhsa_ieee_mode 1
		.amdhsa_fp16_overflow 0
		.amdhsa_tg_split 0
		.amdhsa_exception_fp_ieee_invalid_op 0
		.amdhsa_exception_fp_denorm_src 0
		.amdhsa_exception_fp_ieee_div_zero 0
		.amdhsa_exception_fp_ieee_overflow 0
		.amdhsa_exception_fp_ieee_underflow 0
		.amdhsa_exception_fp_ieee_inexact 0
		.amdhsa_exception_int_div_zero 0
	.end_amdhsa_kernel
	.section	.text._ZN7rocprim17ROCPRIM_304000_NS6detail16transform_kernelINS1_24wrapped_transform_configINS0_14default_configEiEEiPiS6_NS0_8identityIiEEEEvT1_mT2_T3_,"axG",@progbits,_ZN7rocprim17ROCPRIM_304000_NS6detail16transform_kernelINS1_24wrapped_transform_configINS0_14default_configEiEEiPiS6_NS0_8identityIiEEEEvT1_mT2_T3_,comdat
.Lfunc_end22:
	.size	_ZN7rocprim17ROCPRIM_304000_NS6detail16transform_kernelINS1_24wrapped_transform_configINS0_14default_configEiEEiPiS6_NS0_8identityIiEEEEvT1_mT2_T3_, .Lfunc_end22-_ZN7rocprim17ROCPRIM_304000_NS6detail16transform_kernelINS1_24wrapped_transform_configINS0_14default_configEiEEiPiS6_NS0_8identityIiEEEEvT1_mT2_T3_
                                        ; -- End function
	.section	.AMDGPU.csdata,"",@progbits
; Kernel info:
; codeLenInByte = 512
; NumSgprs: 20
; NumVgprs: 10
; NumAgprs: 0
; TotalNumVgprs: 10
; ScratchSize: 0
; MemoryBound: 0
; FloatMode: 240
; IeeeMode: 1
; LDSByteSize: 0 bytes/workgroup (compile time only)
; SGPRBlocks: 2
; VGPRBlocks: 1
; NumSGPRsForWavesPerEU: 20
; NumVGPRsForWavesPerEU: 10
; AccumOffset: 12
; Occupancy: 8
; WaveLimiterHint : 1
; COMPUTE_PGM_RSRC2:SCRATCH_EN: 0
; COMPUTE_PGM_RSRC2:USER_SGPR: 2
; COMPUTE_PGM_RSRC2:TRAP_HANDLER: 0
; COMPUTE_PGM_RSRC2:TGID_X_EN: 1
; COMPUTE_PGM_RSRC2:TGID_Y_EN: 0
; COMPUTE_PGM_RSRC2:TGID_Z_EN: 0
; COMPUTE_PGM_RSRC2:TIDIG_COMP_CNT: 0
; COMPUTE_PGM_RSRC3_GFX90A:ACCUM_OFFSET: 2
; COMPUTE_PGM_RSRC3_GFX90A:TG_SPLIT: 0
	.section	.text._ZN7rocprim17ROCPRIM_304000_NS6detail18single_scan_kernelILb0ENS1_19wrapped_scan_configINS0_14default_configEiEEPKiPiSt10multipliesIiEiiEEvT1_mT4_T2_T3_,"axG",@progbits,_ZN7rocprim17ROCPRIM_304000_NS6detail18single_scan_kernelILb0ENS1_19wrapped_scan_configINS0_14default_configEiEEPKiPiSt10multipliesIiEiiEEvT1_mT4_T2_T3_,comdat
	.protected	_ZN7rocprim17ROCPRIM_304000_NS6detail18single_scan_kernelILb0ENS1_19wrapped_scan_configINS0_14default_configEiEEPKiPiSt10multipliesIiEiiEEvT1_mT4_T2_T3_ ; -- Begin function _ZN7rocprim17ROCPRIM_304000_NS6detail18single_scan_kernelILb0ENS1_19wrapped_scan_configINS0_14default_configEiEEPKiPiSt10multipliesIiEiiEEvT1_mT4_T2_T3_
	.globl	_ZN7rocprim17ROCPRIM_304000_NS6detail18single_scan_kernelILb0ENS1_19wrapped_scan_configINS0_14default_configEiEEPKiPiSt10multipliesIiEiiEEvT1_mT4_T2_T3_
	.p2align	8
	.type	_ZN7rocprim17ROCPRIM_304000_NS6detail18single_scan_kernelILb0ENS1_19wrapped_scan_configINS0_14default_configEiEEPKiPiSt10multipliesIiEiiEEvT1_mT4_T2_T3_,@function
_ZN7rocprim17ROCPRIM_304000_NS6detail18single_scan_kernelILb0ENS1_19wrapped_scan_configINS0_14default_configEiEEPKiPiSt10multipliesIiEiiEEvT1_mT4_T2_T3_: ; @_ZN7rocprim17ROCPRIM_304000_NS6detail18single_scan_kernelILb0ENS1_19wrapped_scan_configINS0_14default_configEiEEPKiPiSt10multipliesIiEiiEEvT1_mT4_T2_T3_
; %bb.0:
	s_load_dwordx4 s[44:47], s[0:1], 0x0
	v_mov_b32_e32 v3, 0
	v_lshlrev_b32_e32 v2, 2, v0
	s_waitcnt lgkmcnt(0)
	s_load_dword s33, s[44:45], 0x0
	v_lshl_add_u64 v[4:5], s[44:45], 0, v[2:3]
	v_cmp_gt_u32_e64 s[16:17], s46, v0
	s_waitcnt lgkmcnt(0)
	v_mov_b32_e32 v1, s33
	s_and_saveexec_b64 s[2:3], s[16:17]
	s_cbranch_execz .LBB23_2
; %bb.1:
	global_load_dword v1, v[4:5], off
.LBB23_2:
	s_or_b64 exec, exec, s[2:3]
	v_or_b32_e32 v3, 0x100, v0
	v_cmp_gt_u32_e64 s[2:3], s46, v3
	v_mov_b32_e32 v3, s33
	s_and_saveexec_b64 s[4:5], s[2:3]
	s_cbranch_execz .LBB23_4
; %bb.3:
	global_load_dword v3, v[4:5], off offset:1024
.LBB23_4:
	s_or_b64 exec, exec, s[4:5]
	v_or_b32_e32 v6, 0x200, v0
	v_cmp_gt_u32_e64 s[4:5], s46, v6
	v_mov_b32_e32 v6, s33
	s_and_saveexec_b64 s[6:7], s[4:5]
	s_cbranch_execz .LBB23_6
; %bb.5:
	global_load_dword v6, v[4:5], off offset:2048
.LBB23_6:
	;; [unrolled: 9-line block ×3, first 2 shown]
	s_or_b64 exec, exec, s[8:9]
	v_or_b32_e32 v8, 0x400, v0
	v_cmp_gt_u32_e64 s[8:9], s46, v8
	v_mov_b32_e32 v8, s33
	s_and_saveexec_b64 s[10:11], s[8:9]
	s_cbranch_execz .LBB23_10
; %bb.9:
	v_add_co_u32_e32 v8, vcc, 0x1000, v4
	s_nop 1
	v_addc_co_u32_e32 v9, vcc, 0, v5, vcc
	global_load_dword v8, v[8:9], off
.LBB23_10:
	s_or_b64 exec, exec, s[10:11]
	v_or_b32_e32 v9, 0x500, v0
	v_cmp_gt_u32_e64 s[10:11], s46, v9
	v_mov_b32_e32 v9, s33
	s_and_saveexec_b64 s[12:13], s[10:11]
	s_cbranch_execz .LBB23_12
; %bb.11:
	v_add_co_u32_e32 v10, vcc, 0x1000, v4
	s_nop 1
	v_addc_co_u32_e32 v11, vcc, 0, v5, vcc
	global_load_dword v9, v[10:11], off offset:1024
.LBB23_12:
	s_or_b64 exec, exec, s[12:13]
	v_or_b32_e32 v10, 0x600, v0
	v_cmp_gt_u32_e64 s[12:13], s46, v10
	v_mov_b32_e32 v10, s33
	s_and_saveexec_b64 s[14:15], s[12:13]
	s_cbranch_execz .LBB23_14
; %bb.13:
	v_add_co_u32_e32 v10, vcc, 0x1000, v4
	s_nop 1
	v_addc_co_u32_e32 v11, vcc, 0, v5, vcc
	global_load_dword v10, v[10:11], off offset:2048
.LBB23_14:
	s_or_b64 exec, exec, s[14:15]
	v_or_b32_e32 v11, 0x700, v0
	v_cmp_gt_u32_e64 s[14:15], s46, v11
	v_mov_b32_e32 v11, s33
	s_and_saveexec_b64 s[18:19], s[14:15]
	s_cbranch_execz .LBB23_16
; %bb.15:
	v_add_co_u32_e32 v12, vcc, 0x1000, v4
	s_nop 1
	v_addc_co_u32_e32 v13, vcc, 0, v5, vcc
	global_load_dword v11, v[12:13], off offset:3072
.LBB23_16:
	s_or_b64 exec, exec, s[18:19]
	v_or_b32_e32 v12, 0x800, v0
	v_cmp_gt_u32_e64 s[18:19], s46, v12
	v_mov_b32_e32 v12, s33
	s_and_saveexec_b64 s[20:21], s[18:19]
	s_cbranch_execz .LBB23_18
; %bb.17:
	v_add_co_u32_e32 v12, vcc, 0x2000, v4
	s_nop 1
	v_addc_co_u32_e32 v13, vcc, 0, v5, vcc
	global_load_dword v12, v[12:13], off
.LBB23_18:
	s_or_b64 exec, exec, s[20:21]
	v_or_b32_e32 v13, 0x900, v0
	v_cmp_gt_u32_e64 s[20:21], s46, v13
	v_mov_b32_e32 v13, s33
	s_and_saveexec_b64 s[22:23], s[20:21]
	s_cbranch_execz .LBB23_20
; %bb.19:
	v_add_co_u32_e32 v14, vcc, 0x2000, v4
	s_nop 1
	v_addc_co_u32_e32 v15, vcc, 0, v5, vcc
	global_load_dword v13, v[14:15], off offset:1024
.LBB23_20:
	s_or_b64 exec, exec, s[22:23]
	v_or_b32_e32 v14, 0xa00, v0
	v_cmp_gt_u32_e64 s[22:23], s46, v14
	v_mov_b32_e32 v14, s33
	s_and_saveexec_b64 s[24:25], s[22:23]
	s_cbranch_execz .LBB23_22
; %bb.21:
	v_add_co_u32_e32 v14, vcc, 0x2000, v4
	s_nop 1
	v_addc_co_u32_e32 v15, vcc, 0, v5, vcc
	global_load_dword v14, v[14:15], off offset:2048
.LBB23_22:
	s_or_b64 exec, exec, s[24:25]
	v_or_b32_e32 v15, 0xb00, v0
	v_cmp_gt_u32_e64 s[24:25], s46, v15
	v_mov_b32_e32 v15, s33
	s_and_saveexec_b64 s[26:27], s[24:25]
	s_cbranch_execz .LBB23_24
; %bb.23:
	v_add_co_u32_e32 v16, vcc, 0x2000, v4
	s_nop 1
	v_addc_co_u32_e32 v17, vcc, 0, v5, vcc
	global_load_dword v15, v[16:17], off offset:3072
.LBB23_24:
	;; [unrolled: 48-line block ×4, first 2 shown]
	s_or_b64 exec, exec, s[44:45]
	v_or_b32_e32 v24, 0x1400, v0
	v_cmp_gt_u32_e64 s[44:45], s46, v24
	v_mov_b32_e32 v24, s33
	s_and_saveexec_b64 s[46:47], s[44:45]
	s_cbranch_execz .LBB23_42
; %bb.41:
	v_add_co_u32_e32 v4, vcc, 0x5000, v4
	s_nop 1
	v_addc_co_u32_e32 v5, vcc, 0, v5, vcc
	global_load_dword v24, v[4:5], off
.LBB23_42:
	s_or_b64 exec, exec, s[46:47]
	s_movk_i32 s33, 0x50
	s_waitcnt vmcnt(0)
	ds_write2st64_b32 v2, v1, v3 offset1:4
	ds_write2st64_b32 v2, v6, v7 offset0:8 offset1:12
	ds_write2st64_b32 v2, v8, v9 offset0:16 offset1:20
	;; [unrolled: 1-line block ×9, first 2 shown]
	ds_write_b32 v2, v24 offset:20480
	v_mad_u32_u24 v1, v0, s33, v2
	s_waitcnt lgkmcnt(0)
	s_barrier
	ds_read2_b32 v[22:23], v1 offset1:1
	ds_read2_b32 v[20:21], v1 offset0:2 offset1:3
	ds_read2_b32 v[18:19], v1 offset0:4 offset1:5
	;; [unrolled: 1-line block ×9, first 2 shown]
	ds_read_b32 v1, v1 offset:80
	s_waitcnt lgkmcnt(10)
	v_mul_lo_u32 v3, v23, v22
	s_waitcnt lgkmcnt(9)
	v_mul_lo_u32 v3, v3, v20
	v_mul_lo_u32 v3, v3, v21
	s_waitcnt lgkmcnt(8)
	v_mul_lo_u32 v3, v3, v18
	v_mul_lo_u32 v3, v3, v19
	s_waitcnt lgkmcnt(7)
	v_mul_lo_u32 v3, v3, v16
	v_mul_lo_u32 v3, v3, v17
	s_waitcnt lgkmcnt(6)
	v_mul_lo_u32 v3, v3, v14
	v_mul_lo_u32 v3, v3, v15
	s_waitcnt lgkmcnt(5)
	v_mul_lo_u32 v3, v3, v12
	v_mul_lo_u32 v3, v3, v13
	s_waitcnt lgkmcnt(4)
	v_mul_lo_u32 v3, v3, v10
	v_mul_lo_u32 v3, v3, v11
	s_waitcnt lgkmcnt(3)
	v_mul_lo_u32 v3, v3, v8
	v_mul_lo_u32 v3, v3, v9
	s_waitcnt lgkmcnt(2)
	v_mul_lo_u32 v3, v3, v6
	v_mul_lo_u32 v3, v3, v7
	s_waitcnt lgkmcnt(1)
	v_mul_lo_u32 v3, v3, v4
	v_mul_lo_u32 v3, v3, v5
	s_waitcnt lgkmcnt(0)
	v_mul_lo_u32 v24, v3, v1
	v_mbcnt_lo_u32_b32 v3, -1, 0
	v_mbcnt_hi_u32_b32 v3, -1, v3
	v_and_b32_e32 v25, 15, v3
	v_mov_b32_dpp v26, v24 row_shr:1 row_mask:0xf bank_mask:0xf
	v_cmp_ne_u32_e32 vcc, 0, v25
	s_barrier
	s_nop 0
	v_cndmask_b32_e32 v26, 1, v26, vcc
	v_mul_lo_u32 v24, v26, v24
	v_cmp_lt_u32_e32 vcc, 1, v25
	s_nop 0
	v_mov_b32_dpp v26, v24 row_shr:2 row_mask:0xf bank_mask:0xf
	v_cndmask_b32_e32 v26, 1, v26, vcc
	v_mul_lo_u32 v24, v24, v26
	v_cmp_lt_u32_e32 vcc, 3, v25
	s_nop 0
	v_mov_b32_dpp v26, v24 row_shr:4 row_mask:0xf bank_mask:0xf
	;; [unrolled: 5-line block ×3, first 2 shown]
	v_cndmask_b32_e32 v25, 1, v26, vcc
	v_mul_lo_u32 v24, v24, v25
	v_and_b32_e32 v26, 16, v3
	v_cmp_ne_u32_e32 vcc, 0, v26
	v_mov_b32_dpp v25, v24 row_bcast:15 row_mask:0xf bank_mask:0xf
	v_lshrrev_b32_e32 v26, 6, v0
	v_cndmask_b32_e32 v25, 1, v25, vcc
	v_mul_lo_u32 v24, v24, v25
	v_cmp_lt_u32_e32 vcc, 31, v3
	s_nop 0
	v_mov_b32_dpp v25, v24 row_bcast:31 row_mask:0xf bank_mask:0xf
	v_cndmask_b32_e32 v25, 1, v25, vcc
	v_mul_lo_u32 v24, v24, v25
	v_or_b32_e32 v25, 63, v0
	v_cmp_eq_u32_e32 vcc, v25, v0
	s_and_saveexec_b64 s[46:47], vcc
	s_cbranch_execz .LBB23_44
; %bb.43:
	v_lshlrev_b32_e32 v25, 2, v26
	ds_write_b32 v25, v24
.LBB23_44:
	s_or_b64 exec, exec, s[46:47]
	v_cmp_gt_u32_e32 vcc, 4, v0
	s_waitcnt lgkmcnt(0)
	s_barrier
	s_and_saveexec_b64 s[46:47], vcc
	s_cbranch_execz .LBB23_46
; %bb.45:
	ds_read_b32 v25, v2
	v_and_b32_e32 v27, 3, v3
	v_cmp_ne_u32_e32 vcc, 0, v27
	s_waitcnt lgkmcnt(0)
	v_mov_b32_dpp v28, v25 row_shr:1 row_mask:0xf bank_mask:0xf
	v_cndmask_b32_e32 v28, 1, v28, vcc
	v_mul_lo_u32 v25, v28, v25
	v_cmp_lt_u32_e32 vcc, 1, v27
	s_nop 0
	v_mov_b32_dpp v28, v25 row_shr:2 row_mask:0xf bank_mask:0xf
	v_cndmask_b32_e32 v27, 1, v28, vcc
	v_mul_lo_u32 v25, v25, v27
	ds_write_b32 v2, v25
.LBB23_46:
	s_or_b64 exec, exec, s[46:47]
	v_mul_u32_u24_e32 v25, 0x50, v0
	v_cmp_lt_u32_e32 vcc, 63, v0
	s_waitcnt lgkmcnt(0)
	s_barrier
	s_waitcnt lgkmcnt(0)
                                        ; implicit-def: $vgpr27
	s_and_saveexec_b64 s[46:47], vcc
	s_cbranch_execz .LBB23_48
; %bb.47:
	v_lshl_add_u32 v26, v26, 2, -4
	ds_read_b32 v27, v26
	s_waitcnt lgkmcnt(0)
	v_mul_lo_u32 v24, v27, v24
.LBB23_48:
	s_or_b64 exec, exec, s[46:47]
	v_add_u32_e32 v26, -1, v3
	v_and_b32_e32 v28, 64, v3
	v_cmp_lt_i32_e32 vcc, v26, v28
	s_barrier
	s_nop 0
	v_cndmask_b32_e32 v26, v26, v3, vcc
	v_lshlrev_b32_e32 v26, 2, v26
	ds_bpermute_b32 v24, v26, v24
	v_cmp_eq_u32_e32 vcc, 0, v3
	s_waitcnt lgkmcnt(0)
	s_load_dwordx2 s[0:1], s[0:1], 0x18
	v_cndmask_b32_e32 v3, v24, v27, vcc
	v_cmp_ne_u32_e32 vcc, 0, v0
	s_nop 1
	v_cndmask_b32_e32 v0, 1, v3, vcc
	v_mul_lo_u32 v0, v0, v22
	v_mul_lo_u32 v3, v0, v23
	;; [unrolled: 1-line block ×21, first 2 shown]
	v_add_u32_e32 v22, v2, v25
	ds_write2_b32 v22, v0, v3 offset1:1
	ds_write2_b32 v22, v20, v21 offset0:2 offset1:3
	ds_write2_b32 v22, v18, v19 offset0:4 offset1:5
	;; [unrolled: 1-line block ×9, first 2 shown]
	ds_write_b32 v22, v1 offset:80
	s_waitcnt lgkmcnt(0)
	s_barrier
	ds_read2st64_b32 v[22:23], v2 offset0:4 offset1:8
	ds_read2st64_b32 v[20:21], v2 offset0:12 offset1:16
	;; [unrolled: 1-line block ×10, first 2 shown]
	v_mov_b32_e32 v3, 0
	v_lshl_add_u64 v[4:5], s[0:1], 0, v[2:3]
	s_and_saveexec_b64 s[0:1], s[16:17]
	s_cbranch_execnz .LBB23_70
; %bb.49:
	s_or_b64 exec, exec, s[0:1]
	s_and_saveexec_b64 s[0:1], s[2:3]
	s_cbranch_execnz .LBB23_71
.LBB23_50:
	s_or_b64 exec, exec, s[0:1]
	s_and_saveexec_b64 s[0:1], s[4:5]
	s_cbranch_execnz .LBB23_72
.LBB23_51:
	s_or_b64 exec, exec, s[0:1]
	s_and_saveexec_b64 s[0:1], s[6:7]
	s_cbranch_execnz .LBB23_73
.LBB23_52:
	s_or_b64 exec, exec, s[0:1]
	s_and_saveexec_b64 s[0:1], s[8:9]
	s_cbranch_execnz .LBB23_74
.LBB23_53:
	s_or_b64 exec, exec, s[0:1]
	s_and_saveexec_b64 s[0:1], s[10:11]
	s_cbranch_execnz .LBB23_75
.LBB23_54:
	s_or_b64 exec, exec, s[0:1]
	s_and_saveexec_b64 s[0:1], s[12:13]
	s_cbranch_execnz .LBB23_76
.LBB23_55:
	s_or_b64 exec, exec, s[0:1]
	s_and_saveexec_b64 s[0:1], s[14:15]
	s_cbranch_execnz .LBB23_77
.LBB23_56:
	s_or_b64 exec, exec, s[0:1]
	s_and_saveexec_b64 s[0:1], s[18:19]
	s_cbranch_execnz .LBB23_78
.LBB23_57:
	s_or_b64 exec, exec, s[0:1]
	s_and_saveexec_b64 s[0:1], s[20:21]
	s_cbranch_execnz .LBB23_79
.LBB23_58:
	s_or_b64 exec, exec, s[0:1]
	s_and_saveexec_b64 s[0:1], s[22:23]
	s_cbranch_execnz .LBB23_80
.LBB23_59:
	s_or_b64 exec, exec, s[0:1]
	s_and_saveexec_b64 s[0:1], s[24:25]
	s_cbranch_execnz .LBB23_81
.LBB23_60:
	s_or_b64 exec, exec, s[0:1]
	s_and_saveexec_b64 s[0:1], s[26:27]
	s_cbranch_execnz .LBB23_82
.LBB23_61:
	s_or_b64 exec, exec, s[0:1]
	s_and_saveexec_b64 s[0:1], s[28:29]
	s_cbranch_execnz .LBB23_83
.LBB23_62:
	s_or_b64 exec, exec, s[0:1]
	s_and_saveexec_b64 s[0:1], s[30:31]
	s_cbranch_execnz .LBB23_84
.LBB23_63:
	s_or_b64 exec, exec, s[0:1]
	s_and_saveexec_b64 s[0:1], s[34:35]
	s_cbranch_execnz .LBB23_85
.LBB23_64:
	s_or_b64 exec, exec, s[0:1]
	s_and_saveexec_b64 s[0:1], s[36:37]
	s_cbranch_execnz .LBB23_86
.LBB23_65:
	s_or_b64 exec, exec, s[0:1]
	s_and_saveexec_b64 s[0:1], s[38:39]
	s_cbranch_execnz .LBB23_87
.LBB23_66:
	s_or_b64 exec, exec, s[0:1]
	s_and_saveexec_b64 s[0:1], s[40:41]
	s_cbranch_execnz .LBB23_88
.LBB23_67:
	s_or_b64 exec, exec, s[0:1]
	s_and_saveexec_b64 s[0:1], s[42:43]
	s_cbranch_execnz .LBB23_89
.LBB23_68:
	s_or_b64 exec, exec, s[0:1]
	s_and_saveexec_b64 s[0:1], s[44:45]
	s_cbranch_execnz .LBB23_90
.LBB23_69:
	s_endpgm
.LBB23_70:
	ds_read_b32 v2, v2
	s_waitcnt lgkmcnt(0)
	global_store_dword v[4:5], v2, off
	s_or_b64 exec, exec, s[0:1]
	s_and_saveexec_b64 s[0:1], s[2:3]
	s_cbranch_execz .LBB23_50
.LBB23_71:
	s_waitcnt lgkmcnt(9)
	global_store_dword v[4:5], v22, off offset:1024
	s_or_b64 exec, exec, s[0:1]
	s_and_saveexec_b64 s[0:1], s[4:5]
	s_cbranch_execz .LBB23_51
.LBB23_72:
	s_waitcnt lgkmcnt(9)
	global_store_dword v[4:5], v23, off offset:2048
	s_or_b64 exec, exec, s[0:1]
	s_and_saveexec_b64 s[0:1], s[6:7]
	s_cbranch_execz .LBB23_52
.LBB23_73:
	s_waitcnt lgkmcnt(8)
	global_store_dword v[4:5], v20, off offset:3072
	s_or_b64 exec, exec, s[0:1]
	s_and_saveexec_b64 s[0:1], s[8:9]
	s_cbranch_execz .LBB23_53
.LBB23_74:
	v_add_co_u32_e32 v2, vcc, 0x1000, v4
	s_nop 1
	v_addc_co_u32_e32 v3, vcc, 0, v5, vcc
	s_waitcnt lgkmcnt(8)
	global_store_dword v[2:3], v21, off
	s_or_b64 exec, exec, s[0:1]
	s_and_saveexec_b64 s[0:1], s[10:11]
	s_cbranch_execz .LBB23_54
.LBB23_75:
	v_add_co_u32_e32 v2, vcc, 0x1000, v4
	s_nop 1
	v_addc_co_u32_e32 v3, vcc, 0, v5, vcc
	s_waitcnt lgkmcnt(7)
	global_store_dword v[2:3], v18, off offset:1024
	s_or_b64 exec, exec, s[0:1]
	s_and_saveexec_b64 s[0:1], s[12:13]
	s_cbranch_execz .LBB23_55
.LBB23_76:
	v_add_co_u32_e32 v2, vcc, 0x1000, v4
	s_nop 1
	v_addc_co_u32_e32 v3, vcc, 0, v5, vcc
	s_waitcnt lgkmcnt(7)
	global_store_dword v[2:3], v19, off offset:2048
	s_or_b64 exec, exec, s[0:1]
	s_and_saveexec_b64 s[0:1], s[14:15]
	s_cbranch_execz .LBB23_56
.LBB23_77:
	v_add_co_u32_e32 v2, vcc, 0x1000, v4
	s_nop 1
	v_addc_co_u32_e32 v3, vcc, 0, v5, vcc
	s_waitcnt lgkmcnt(6)
	global_store_dword v[2:3], v16, off offset:3072
	s_or_b64 exec, exec, s[0:1]
	s_and_saveexec_b64 s[0:1], s[18:19]
	s_cbranch_execz .LBB23_57
.LBB23_78:
	v_add_co_u32_e32 v2, vcc, 0x2000, v4
	s_nop 1
	v_addc_co_u32_e32 v3, vcc, 0, v5, vcc
	s_waitcnt lgkmcnt(6)
	global_store_dword v[2:3], v17, off
	s_or_b64 exec, exec, s[0:1]
	s_and_saveexec_b64 s[0:1], s[20:21]
	s_cbranch_execz .LBB23_58
.LBB23_79:
	v_add_co_u32_e32 v2, vcc, 0x2000, v4
	s_nop 1
	v_addc_co_u32_e32 v3, vcc, 0, v5, vcc
	s_waitcnt lgkmcnt(5)
	global_store_dword v[2:3], v14, off offset:1024
	s_or_b64 exec, exec, s[0:1]
	s_and_saveexec_b64 s[0:1], s[22:23]
	s_cbranch_execz .LBB23_59
.LBB23_80:
	v_add_co_u32_e32 v2, vcc, 0x2000, v4
	s_nop 1
	v_addc_co_u32_e32 v3, vcc, 0, v5, vcc
	s_waitcnt lgkmcnt(5)
	global_store_dword v[2:3], v15, off offset:2048
	s_or_b64 exec, exec, s[0:1]
	s_and_saveexec_b64 s[0:1], s[24:25]
	s_cbranch_execz .LBB23_60
.LBB23_81:
	v_add_co_u32_e32 v2, vcc, 0x2000, v4
	s_nop 1
	v_addc_co_u32_e32 v3, vcc, 0, v5, vcc
	s_waitcnt lgkmcnt(4)
	global_store_dword v[2:3], v12, off offset:3072
	s_or_b64 exec, exec, s[0:1]
	s_and_saveexec_b64 s[0:1], s[26:27]
	s_cbranch_execz .LBB23_61
.LBB23_82:
	v_add_co_u32_e32 v2, vcc, 0x3000, v4
	s_nop 1
	v_addc_co_u32_e32 v3, vcc, 0, v5, vcc
	s_waitcnt lgkmcnt(4)
	global_store_dword v[2:3], v13, off
	s_or_b64 exec, exec, s[0:1]
	s_and_saveexec_b64 s[0:1], s[28:29]
	s_cbranch_execz .LBB23_62
.LBB23_83:
	v_add_co_u32_e32 v2, vcc, 0x3000, v4
	s_nop 1
	v_addc_co_u32_e32 v3, vcc, 0, v5, vcc
	s_waitcnt lgkmcnt(3)
	global_store_dword v[2:3], v10, off offset:1024
	s_or_b64 exec, exec, s[0:1]
	s_and_saveexec_b64 s[0:1], s[30:31]
	s_cbranch_execz .LBB23_63
.LBB23_84:
	v_add_co_u32_e32 v2, vcc, 0x3000, v4
	s_nop 1
	v_addc_co_u32_e32 v3, vcc, 0, v5, vcc
	s_waitcnt lgkmcnt(3)
	global_store_dword v[2:3], v11, off offset:2048
	s_or_b64 exec, exec, s[0:1]
	s_and_saveexec_b64 s[0:1], s[34:35]
	s_cbranch_execz .LBB23_64
.LBB23_85:
	v_add_co_u32_e32 v2, vcc, 0x3000, v4
	s_nop 1
	v_addc_co_u32_e32 v3, vcc, 0, v5, vcc
	s_waitcnt lgkmcnt(2)
	global_store_dword v[2:3], v8, off offset:3072
	s_or_b64 exec, exec, s[0:1]
	s_and_saveexec_b64 s[0:1], s[36:37]
	s_cbranch_execz .LBB23_65
.LBB23_86:
	v_add_co_u32_e32 v2, vcc, 0x4000, v4
	s_nop 1
	v_addc_co_u32_e32 v3, vcc, 0, v5, vcc
	s_waitcnt lgkmcnt(2)
	global_store_dword v[2:3], v9, off
	s_or_b64 exec, exec, s[0:1]
	s_and_saveexec_b64 s[0:1], s[38:39]
	s_cbranch_execz .LBB23_66
.LBB23_87:
	v_add_co_u32_e32 v2, vcc, 0x4000, v4
	s_nop 1
	v_addc_co_u32_e32 v3, vcc, 0, v5, vcc
	s_waitcnt lgkmcnt(1)
	global_store_dword v[2:3], v6, off offset:1024
	s_or_b64 exec, exec, s[0:1]
	s_and_saveexec_b64 s[0:1], s[40:41]
	s_cbranch_execz .LBB23_67
.LBB23_88:
	v_add_co_u32_e32 v2, vcc, 0x4000, v4
	s_nop 1
	v_addc_co_u32_e32 v3, vcc, 0, v5, vcc
	s_waitcnt lgkmcnt(1)
	global_store_dword v[2:3], v7, off offset:2048
	s_or_b64 exec, exec, s[0:1]
	s_and_saveexec_b64 s[0:1], s[42:43]
	s_cbranch_execz .LBB23_68
.LBB23_89:
	v_add_co_u32_e32 v2, vcc, 0x4000, v4
	s_nop 1
	v_addc_co_u32_e32 v3, vcc, 0, v5, vcc
	s_waitcnt lgkmcnt(0)
	global_store_dword v[2:3], v0, off offset:3072
	s_or_b64 exec, exec, s[0:1]
	s_and_saveexec_b64 s[0:1], s[44:45]
	s_cbranch_execz .LBB23_69
.LBB23_90:
	v_add_co_u32_e32 v2, vcc, 0x5000, v4
	s_nop 1
	v_addc_co_u32_e32 v3, vcc, 0, v5, vcc
	s_waitcnt lgkmcnt(0)
	global_store_dword v[2:3], v1, off
	s_endpgm
	.section	.rodata,"a",@progbits
	.p2align	6, 0x0
	.amdhsa_kernel _ZN7rocprim17ROCPRIM_304000_NS6detail18single_scan_kernelILb0ENS1_19wrapped_scan_configINS0_14default_configEiEEPKiPiSt10multipliesIiEiiEEvT1_mT4_T2_T3_
		.amdhsa_group_segment_fixed_size 21504
		.amdhsa_private_segment_fixed_size 0
		.amdhsa_kernarg_size 36
		.amdhsa_user_sgpr_count 2
		.amdhsa_user_sgpr_dispatch_ptr 0
		.amdhsa_user_sgpr_queue_ptr 0
		.amdhsa_user_sgpr_kernarg_segment_ptr 1
		.amdhsa_user_sgpr_dispatch_id 0
		.amdhsa_user_sgpr_kernarg_preload_length 0
		.amdhsa_user_sgpr_kernarg_preload_offset 0
		.amdhsa_user_sgpr_private_segment_size 0
		.amdhsa_uses_dynamic_stack 0
		.amdhsa_enable_private_segment 0
		.amdhsa_system_sgpr_workgroup_id_x 1
		.amdhsa_system_sgpr_workgroup_id_y 0
		.amdhsa_system_sgpr_workgroup_id_z 0
		.amdhsa_system_sgpr_workgroup_info 0
		.amdhsa_system_vgpr_workitem_id 0
		.amdhsa_next_free_vgpr 29
		.amdhsa_next_free_sgpr 48
		.amdhsa_accum_offset 32
		.amdhsa_reserve_vcc 1
		.amdhsa_float_round_mode_32 0
		.amdhsa_float_round_mode_16_64 0
		.amdhsa_float_denorm_mode_32 3
		.amdhsa_float_denorm_mode_16_64 3
		.amdhsa_dx10_clamp 1
		.amdhsa_ieee_mode 1
		.amdhsa_fp16_overflow 0
		.amdhsa_tg_split 0
		.amdhsa_exception_fp_ieee_invalid_op 0
		.amdhsa_exception_fp_denorm_src 0
		.amdhsa_exception_fp_ieee_div_zero 0
		.amdhsa_exception_fp_ieee_overflow 0
		.amdhsa_exception_fp_ieee_underflow 0
		.amdhsa_exception_fp_ieee_inexact 0
		.amdhsa_exception_int_div_zero 0
	.end_amdhsa_kernel
	.section	.text._ZN7rocprim17ROCPRIM_304000_NS6detail18single_scan_kernelILb0ENS1_19wrapped_scan_configINS0_14default_configEiEEPKiPiSt10multipliesIiEiiEEvT1_mT4_T2_T3_,"axG",@progbits,_ZN7rocprim17ROCPRIM_304000_NS6detail18single_scan_kernelILb0ENS1_19wrapped_scan_configINS0_14default_configEiEEPKiPiSt10multipliesIiEiiEEvT1_mT4_T2_T3_,comdat
.Lfunc_end23:
	.size	_ZN7rocprim17ROCPRIM_304000_NS6detail18single_scan_kernelILb0ENS1_19wrapped_scan_configINS0_14default_configEiEEPKiPiSt10multipliesIiEiiEEvT1_mT4_T2_T3_, .Lfunc_end23-_ZN7rocprim17ROCPRIM_304000_NS6detail18single_scan_kernelILb0ENS1_19wrapped_scan_configINS0_14default_configEiEEPKiPiSt10multipliesIiEiiEEvT1_mT4_T2_T3_
                                        ; -- End function
	.section	.AMDGPU.csdata,"",@progbits
; Kernel info:
; codeLenInByte = 3396
; NumSgprs: 54
; NumVgprs: 29
; NumAgprs: 0
; TotalNumVgprs: 29
; ScratchSize: 0
; MemoryBound: 0
; FloatMode: 240
; IeeeMode: 1
; LDSByteSize: 21504 bytes/workgroup (compile time only)
; SGPRBlocks: 6
; VGPRBlocks: 3
; NumSGPRsForWavesPerEU: 54
; NumVGPRsForWavesPerEU: 29
; AccumOffset: 32
; Occupancy: 3
; WaveLimiterHint : 0
; COMPUTE_PGM_RSRC2:SCRATCH_EN: 0
; COMPUTE_PGM_RSRC2:USER_SGPR: 2
; COMPUTE_PGM_RSRC2:TRAP_HANDLER: 0
; COMPUTE_PGM_RSRC2:TGID_X_EN: 1
; COMPUTE_PGM_RSRC2:TGID_Y_EN: 0
; COMPUTE_PGM_RSRC2:TGID_Z_EN: 0
; COMPUTE_PGM_RSRC2:TIDIG_COMP_CNT: 0
; COMPUTE_PGM_RSRC3_GFX90A:ACCUM_OFFSET: 7
; COMPUTE_PGM_RSRC3_GFX90A:TG_SPLIT: 0
	.section	.text._ZN2at6native32tensor_kernel_scan_innermost_dimIiSt10multipliesIiEEEvPT_PKS4_jjjS4_T0_,"axG",@progbits,_ZN2at6native32tensor_kernel_scan_innermost_dimIiSt10multipliesIiEEEvPT_PKS4_jjjS4_T0_,comdat
	.protected	_ZN2at6native32tensor_kernel_scan_innermost_dimIiSt10multipliesIiEEEvPT_PKS4_jjjS4_T0_ ; -- Begin function _ZN2at6native32tensor_kernel_scan_innermost_dimIiSt10multipliesIiEEEvPT_PKS4_jjjS4_T0_
	.globl	_ZN2at6native32tensor_kernel_scan_innermost_dimIiSt10multipliesIiEEEvPT_PKS4_jjjS4_T0_
	.p2align	8
	.type	_ZN2at6native32tensor_kernel_scan_innermost_dimIiSt10multipliesIiEEEvPT_PKS4_jjjS4_T0_,@function
_ZN2at6native32tensor_kernel_scan_innermost_dimIiSt10multipliesIiEEEvPT_PKS4_jjjS4_T0_: ; @_ZN2at6native32tensor_kernel_scan_innermost_dimIiSt10multipliesIiEEEvPT_PKS4_jjjS4_T0_
; %bb.0:
	s_load_dwordx8 s[12:19], s[0:1], 0x0
	v_bfe_u32 v2, v0, 10, 10
	s_waitcnt lgkmcnt(0)
	s_lshl_b32 s3, 2, s18
	v_mul_lo_u32 v1, s3, v2
	s_mul_hi_u32 s4, s16, s17
	s_mov_b32 s20, s16
	v_lshl_add_u32 v18, v1, 2, 0
	s_cmp_lg_u32 s4, 0
	s_mov_b64 s[4:5], -1
	s_cbranch_scc1 .LBB24_26
; %bb.1:
	s_load_dword s6, s[0:1], 0x34
	s_add_u32 s4, s0, 40
	s_addc_u32 s5, s1, 0
	s_waitcnt lgkmcnt(0)
	s_lshr_b32 s6, s6, 16
	s_mul_i32 s21, s2, s6
	s_cmp_ge_u32 s21, s16
	s_cbranch_scc1 .LBB24_25
; %bb.2:
	s_load_dword s27, s[4:5], 0x0
	s_lshl_b32 s26, 1, s18
	s_cmp_lg_u32 s17, 0
	v_and_b32_e32 v1, 0x3ff, v0
	s_cselect_b64 s[4:5], -1, 0
	v_lshl_add_u32 v3, v1, 2, v18
	v_add_u32_e32 v13, -4, v18
	v_cndmask_b32_e64 v4, 0, 1, s[4:5]
	v_lshl_add_u32 v12, s26, 2, v3
	v_cmp_eq_u32_e64 s[8:9], 0, v1
	v_lshl_add_u32 v14, s3, 2, v13
	s_waitcnt lgkmcnt(0)
	s_mul_i32 s27, s27, s6
	s_add_i32 s28, s18, 1
	v_cmp_ne_u32_e64 s[4:5], 1, v4
	v_mov_b32_e32 v5, 0
	s_branch .LBB24_4
.LBB24_3:                               ;   in Loop: Header=BB24_4 Depth=1
	s_add_i32 s21, s21, s27
	s_cmp_ge_u32 s21, s16
	s_cbranch_scc1 .LBB24_25
.LBB24_4:                               ; =>This Loop Header: Depth=1
                                        ;     Child Loop BB24_7 Depth 2
                                        ;       Child Loop BB24_16 Depth 3
	s_and_b64 vcc, exec, s[4:5]
	s_cbranch_vccnz .LBB24_3
; %bb.5:                                ;   in Loop: Header=BB24_4 Depth=1
	v_add_u32_e32 v10, s21, v2
	v_mul_lo_u32 v4, v10, s17
	v_lshlrev_b64 v[8:9], 2, v[4:5]
	v_lshl_add_u64 v[6:7], s[14:15], 0, v[8:9]
	v_lshl_add_u64 v[8:9], s[12:13], 0, v[8:9]
	v_cmp_gt_u32_e32 vcc, s16, v10
	v_cmp_le_u32_e64 s[6:7], s16, v10
	s_mov_b32 s29, 0
	v_mov_b32_e32 v15, s19
	s_branch .LBB24_7
.LBB24_6:                               ;   in Loop: Header=BB24_7 Depth=2
	s_or_b64 exec, exec, s[22:23]
	ds_read_b32 v15, v14
	s_add_i32 s29, s29, s3
	s_cmp_ge_u32 s29, s17
	s_waitcnt lgkmcnt(0)
	s_barrier
	s_cbranch_scc1 .LBB24_3
.LBB24_7:                               ;   Parent Loop BB24_4 Depth=1
                                        ; =>  This Loop Header: Depth=2
                                        ;       Child Loop BB24_16 Depth 3
	v_add_u32_e32 v4, s29, v1
	v_add_u32_e32 v10, s26, v4
	s_and_saveexec_b64 s[22:23], vcc
	s_cbranch_execz .LBB24_14
; %bb.8:                                ;   in Loop: Header=BB24_7 Depth=2
	v_cmp_gt_u32_e64 s[10:11], s17, v4
	v_mov_b32_e32 v11, s19
	s_and_saveexec_b64 s[24:25], s[10:11]
	s_cbranch_execz .LBB24_10
; %bb.9:                                ;   in Loop: Header=BB24_7 Depth=2
	v_lshl_add_u64 v[16:17], v[4:5], 2, v[6:7]
	global_load_dword v11, v[16:17], off
.LBB24_10:                              ;   in Loop: Header=BB24_7 Depth=2
	s_or_b64 exec, exec, s[24:25]
	s_waitcnt vmcnt(0)
	ds_write_b32 v3, v11
	v_cmp_gt_u32_e64 s[10:11], s17, v10
	v_mov_b32_e32 v11, s19
	s_and_saveexec_b64 s[24:25], s[10:11]
	s_cbranch_execz .LBB24_12
; %bb.11:                               ;   in Loop: Header=BB24_7 Depth=2
	v_mov_b32_e32 v11, v5
	v_lshl_add_u64 v[16:17], v[10:11], 2, v[6:7]
	global_load_dword v11, v[16:17], off
.LBB24_12:                              ;   in Loop: Header=BB24_7 Depth=2
	s_or_b64 exec, exec, s[24:25]
	s_waitcnt vmcnt(0)
	ds_write_b32 v12, v11
	s_and_b64 exec, exec, s[8:9]
	s_cbranch_execz .LBB24_14
; %bb.13:                               ;   in Loop: Header=BB24_7 Depth=2
	ds_read_b32 v11, v18
	s_waitcnt lgkmcnt(0)
	v_mul_lo_u32 v11, v11, v15
	ds_write_b32 v18, v11
.LBB24_14:                              ;   in Loop: Header=BB24_7 Depth=2
	s_or_b64 exec, exec, s[22:23]
	s_mov_b64 s[22:23], 0
	v_mov_b32_e32 v11, 0
	s_waitcnt lgkmcnt(0)
	s_barrier
	s_branch .LBB24_16
.LBB24_15:                              ;   in Loop: Header=BB24_16 Depth=3
	s_or_b64 exec, exec, s[10:11]
	v_cmp_eq_u32_e64 s[10:11], s28, v11
	s_or_b64 s[22:23], s[10:11], s[22:23]
	s_waitcnt lgkmcnt(0)
	s_barrier
	s_andn2_b64 exec, exec, s[22:23]
	s_cbranch_execz .LBB24_20
.LBB24_16:                              ;   Parent Loop BB24_4 Depth=1
                                        ;     Parent Loop BB24_7 Depth=2
                                        ; =>    This Inner Loop Header: Depth=3
	v_add_u32_e32 v15, 1, v11
	s_and_saveexec_b64 s[10:11], s[6:7]
	s_xor_b64 s[10:11], exec, s[10:11]
; %bb.17:                               ;   in Loop: Header=BB24_16 Depth=3
	v_add_u32_e32 v11, 1, v11
                                        ; implicit-def: $vgpr15
; %bb.18:                               ;   in Loop: Header=BB24_16 Depth=3
	s_andn2_saveexec_b64 s[10:11], s[10:11]
	s_cbranch_execz .LBB24_15
; %bb.19:                               ;   in Loop: Header=BB24_16 Depth=3
	v_lshlrev_b32_e64 v16, v11, 1
	v_lshrrev_b32_e32 v17, v11, v1
	v_bfm_b32 v11, v11, 0
	v_lshl_or_b32 v16, v17, v15, v16
	v_and_b32_e32 v11, v11, v1
	v_lshlrev_b32_e32 v16, 2, v16
	v_lshlrev_b32_e32 v11, 2, v11
	v_add3_u32 v11, v18, v16, v11
	v_add_u32_e32 v16, v13, v16
	ds_read_b32 v17, v11
	ds_read_b32 v16, v16
	s_waitcnt lgkmcnt(0)
	v_mul_lo_u32 v16, v16, v17
	ds_write_b32 v11, v16
	v_mov_b32_e32 v11, v15
	s_branch .LBB24_15
.LBB24_20:                              ;   in Loop: Header=BB24_7 Depth=2
	s_or_b64 exec, exec, s[22:23]
	s_and_saveexec_b64 s[22:23], vcc
	s_cbranch_execz .LBB24_6
; %bb.21:                               ;   in Loop: Header=BB24_7 Depth=2
	v_cmp_gt_u32_e64 s[10:11], s17, v4
	s_and_saveexec_b64 s[24:25], s[10:11]
	s_cbranch_execz .LBB24_23
; %bb.22:                               ;   in Loop: Header=BB24_7 Depth=2
	ds_read_b32 v11, v3
	v_lshl_add_u64 v[16:17], v[4:5], 2, v[8:9]
	s_waitcnt lgkmcnt(0)
	global_store_dword v[16:17], v11, off
.LBB24_23:                              ;   in Loop: Header=BB24_7 Depth=2
	s_or_b64 exec, exec, s[24:25]
	v_cmp_gt_u32_e64 s[10:11], s17, v10
	s_and_b64 exec, exec, s[10:11]
	s_cbranch_execz .LBB24_6
; %bb.24:                               ;   in Loop: Header=BB24_7 Depth=2
	ds_read_b32 v4, v12
	v_mov_b32_e32 v11, v5
	v_lshl_add_u64 v[10:11], v[10:11], 2, v[8:9]
	s_waitcnt lgkmcnt(0)
	global_store_dword v[10:11], v4, off
	s_branch .LBB24_6
.LBB24_25:
	s_mov_b64 s[4:5], 0
.LBB24_26:
	s_andn2_b64 vcc, exec, s[4:5]
	s_cbranch_vccnz .LBB24_53
; %bb.27:
	s_load_dword s3, s[0:1], 0x34
	s_add_u32 s4, s0, 40
	s_mov_b32 s21, 0
	s_addc_u32 s5, s1, 0
	v_mov_b64_e32 v[4:5], s[20:21]
	s_waitcnt lgkmcnt(0)
	s_lshr_b32 s0, s3, 16
	s_mul_hi_u32 s9, s0, s2
	s_mul_i32 s8, s0, s2
	v_cmp_ge_u64_e32 vcc, s[8:9], v[4:5]
	s_cbranch_vccnz .LBB24_53
; %bb.28:
	s_lshl_b32 s10, 1, s18
	s_load_dword s4, s[4:5], 0x0
	s_and_b32 s6, 0xffff, s0
	s_ashr_i32 s11, s10, 31
	s_cmp_lg_u32 s17, 0
	s_mov_b32 s22, s17
	v_and_b32_e32 v0, 0x3ff, v0
	s_cselect_b64 s[2:3], -1, 0
	s_lshl_b64 s[16:17], s[10:11], 1
	v_mov_b32_e32 v3, 0
	v_lshl_add_u32 v19, v0, 2, v18
	s_lshl_b32 s5, s16, 2
	v_cndmask_b32_e64 v4, 0, 1, s[2:3]
	s_mov_b32 s23, s21
	v_mov_b32_e32 v1, v3
	v_lshl_add_u32 v20, s10, 2, v19
	v_cmp_eq_u32_e64 s[0:1], 0, v0
	v_add3_u32 v21, v18, s5, -4
	s_waitcnt lgkmcnt(0)
	s_mul_i32 s33, s4, s6
	s_add_i32 s18, s18, 1
	v_cmp_ne_u32_e64 s[2:3], 1, v4
	v_mov_b64_e32 v[4:5], s[20:21]
	s_branch .LBB24_30
.LBB24_29:                              ;   in Loop: Header=BB24_30 Depth=1
	s_add_u32 s8, s8, s33
	s_addc_u32 s9, s9, 0
	v_cmp_ge_u64_e32 vcc, s[8:9], v[4:5]
	s_cbranch_vccnz .LBB24_53
.LBB24_30:                              ; =>This Loop Header: Depth=1
                                        ;     Child Loop BB24_33 Depth 2
                                        ;       Child Loop BB24_43 Depth 3
	s_and_b64 vcc, exec, s[2:3]
	s_cbranch_vccnz .LBB24_29
; %bb.31:                               ;   in Loop: Header=BB24_30 Depth=1
	v_lshl_add_u64 v[10:11], s[8:9], 0, v[2:3]
	v_mad_u64_u32 v[6:7], s[4:5], v10, s22, 0
	v_mov_b32_e32 v8, v7
	v_mad_u64_u32 v[8:9], s[4:5], v11, s22, v[8:9]
	v_mov_b32_e32 v7, v8
	v_lshlrev_b64 v[8:9], 2, v[6:7]
	v_lshl_add_u64 v[6:7], s[14:15], 0, v[8:9]
	v_lshl_add_u64 v[8:9], s[12:13], 0, v[8:9]
	v_cmp_gt_u64_e64 s[4:5], s[20:21], v[10:11]
	v_cmp_le_u64_e64 s[6:7], s[20:21], v[10:11]
	s_mov_b64 s[24:25], 0
	v_mov_b32_e32 v14, s19
	s_branch .LBB24_33
.LBB24_32:                              ;   in Loop: Header=BB24_33 Depth=2
	s_or_b64 exec, exec, s[26:27]
	ds_read_b32 v14, v21
	s_add_u32 s24, s24, s16
	s_addc_u32 s25, s25, s17
	v_mov_b64_e32 v[10:11], s[22:23]
	v_cmp_ge_u64_e32 vcc, s[24:25], v[10:11]
	s_waitcnt lgkmcnt(0)
	s_barrier
	s_cbranch_vccnz .LBB24_29
.LBB24_33:                              ;   Parent Loop BB24_30 Depth=1
                                        ; =>  This Loop Header: Depth=2
                                        ;       Child Loop BB24_43 Depth 3
	v_lshl_add_u64 v[12:13], s[24:25], 0, v[0:1]
	v_lshl_add_u64 v[10:11], v[12:13], 0, s[10:11]
	s_and_saveexec_b64 s[26:27], s[4:5]
	s_cbranch_execz .LBB24_40
; %bb.34:                               ;   in Loop: Header=BB24_33 Depth=2
	v_cmp_gt_u64_e32 vcc, s[22:23], v[12:13]
	v_mov_b32_e32 v15, s19
	s_and_saveexec_b64 s[28:29], vcc
	s_cbranch_execz .LBB24_36
; %bb.35:                               ;   in Loop: Header=BB24_33 Depth=2
	v_lshl_add_u64 v[16:17], v[12:13], 2, v[6:7]
	global_load_dword v15, v[16:17], off
.LBB24_36:                              ;   in Loop: Header=BB24_33 Depth=2
	s_or_b64 exec, exec, s[28:29]
	s_waitcnt vmcnt(0)
	ds_write_b32 v19, v15
	v_cmp_gt_u64_e32 vcc, s[22:23], v[10:11]
	v_mov_b32_e32 v15, s19
	s_and_saveexec_b64 s[28:29], vcc
	s_cbranch_execz .LBB24_38
; %bb.37:                               ;   in Loop: Header=BB24_33 Depth=2
	v_lshl_add_u64 v[16:17], v[10:11], 2, v[6:7]
	global_load_dword v15, v[16:17], off
.LBB24_38:                              ;   in Loop: Header=BB24_33 Depth=2
	s_or_b64 exec, exec, s[28:29]
	s_waitcnt vmcnt(0)
	ds_write_b32 v20, v15
	s_and_b64 exec, exec, s[0:1]
	s_cbranch_execz .LBB24_40
; %bb.39:                               ;   in Loop: Header=BB24_33 Depth=2
	ds_read_b32 v15, v18
	s_waitcnt lgkmcnt(0)
	v_mul_lo_u32 v14, v15, v14
	ds_write_b32 v18, v14
.LBB24_40:                              ;   in Loop: Header=BB24_33 Depth=2
	s_or_b64 exec, exec, s[26:27]
	s_mov_b64 s[26:27], 0
	v_mov_b32_e32 v23, 0
	s_waitcnt lgkmcnt(0)
	s_barrier
	s_branch .LBB24_43
.LBB24_41:                              ;   in Loop: Header=BB24_43 Depth=3
	s_or_b64 exec, exec, s[30:31]
	v_lshrrev_b32_e32 v15, v23, v0
	v_lshl_or_b32 v14, v15, v22, v14
	v_lshl_add_u32 v14, v14, 2, v18
	v_lshl_add_u32 v15, v16, 2, v14
	v_add_u32_e32 v14, -4, v14
	ds_read_b32 v16, v15
	ds_read_b32 v14, v14
	s_waitcnt lgkmcnt(0)
	v_mul_lo_u32 v14, v14, v16
	ds_write_b32 v15, v14
.LBB24_42:                              ;   in Loop: Header=BB24_43 Depth=3
	s_or_b64 exec, exec, s[28:29]
	v_cmp_eq_u32_e32 vcc, s18, v22
	s_or_b64 s[26:27], vcc, s[26:27]
	v_mov_b32_e32 v23, v22
	s_waitcnt lgkmcnt(0)
	s_barrier
	s_andn2_b64 exec, exec, s[26:27]
	s_cbranch_execz .LBB24_48
.LBB24_43:                              ;   Parent Loop BB24_30 Depth=1
                                        ;     Parent Loop BB24_33 Depth=2
                                        ; =>    This Inner Loop Header: Depth=3
	v_add_u32_e32 v22, 1, v23
	s_and_saveexec_b64 s[28:29], s[6:7]
	s_xor_b64 s[28:29], exec, s[28:29]
; %bb.44:                               ;   in Loop: Header=BB24_43 Depth=3
	v_add_u32_e32 v22, 1, v23
                                        ; implicit-def: $vgpr23
; %bb.45:                               ;   in Loop: Header=BB24_43 Depth=3
	s_andn2_saveexec_b64 s[28:29], s[28:29]
	s_cbranch_execz .LBB24_42
; %bb.46:                               ;   in Loop: Header=BB24_43 Depth=3
	v_lshlrev_b32_e64 v14, v23, 1
	v_ashrrev_i32_e32 v15, 31, v14
	v_cmp_ge_u64_e32 vcc, v[0:1], v[14:15]
	v_mov_b64_e32 v[16:17], v[0:1]
	s_and_saveexec_b64 s[30:31], vcc
	s_cbranch_execz .LBB24_41
; %bb.47:                               ;   in Loop: Header=BB24_43 Depth=3
	v_cvt_f32_u32_e32 v15, v14
	v_sub_u32_e32 v16, 0, v14
	v_rcp_iflag_f32_e32 v15, v15
	s_nop 0
	v_mul_f32_e32 v15, 0x4f7ffffe, v15
	v_cvt_u32_f32_e32 v15, v15
	v_mul_lo_u32 v16, v16, v15
	v_mul_hi_u32 v16, v15, v16
	v_add_u32_e32 v15, v15, v16
	v_mul_hi_u32 v15, v0, v15
	v_mul_lo_u32 v15, v15, v14
	v_sub_u32_e32 v15, v0, v15
	v_sub_u32_e32 v16, v15, v14
	v_cmp_ge_u32_e32 vcc, v15, v14
	s_nop 1
	v_cndmask_b32_e32 v15, v15, v16, vcc
	v_sub_u32_e32 v16, v15, v14
	v_cmp_ge_u32_e32 vcc, v15, v14
	s_nop 1
	v_cndmask_b32_e32 v16, v15, v16, vcc
	s_branch .LBB24_41
.LBB24_48:                              ;   in Loop: Header=BB24_33 Depth=2
	s_or_b64 exec, exec, s[26:27]
	s_and_saveexec_b64 s[26:27], s[4:5]
	s_cbranch_execz .LBB24_32
; %bb.49:                               ;   in Loop: Header=BB24_33 Depth=2
	v_cmp_gt_u64_e32 vcc, s[22:23], v[12:13]
	s_and_saveexec_b64 s[28:29], vcc
	s_cbranch_execz .LBB24_51
; %bb.50:                               ;   in Loop: Header=BB24_33 Depth=2
	ds_read_b32 v14, v19
	v_lshl_add_u64 v[12:13], v[12:13], 2, v[8:9]
	s_waitcnt lgkmcnt(0)
	global_store_dword v[12:13], v14, off
.LBB24_51:                              ;   in Loop: Header=BB24_33 Depth=2
	s_or_b64 exec, exec, s[28:29]
	v_cmp_gt_u64_e32 vcc, s[22:23], v[10:11]
	s_and_b64 exec, exec, vcc
	s_cbranch_execz .LBB24_32
; %bb.52:                               ;   in Loop: Header=BB24_33 Depth=2
	ds_read_b32 v12, v20
	v_lshl_add_u64 v[10:11], v[10:11], 2, v[8:9]
	s_waitcnt lgkmcnt(0)
	global_store_dword v[10:11], v12, off
	s_branch .LBB24_32
.LBB24_53:
	s_endpgm
	.section	.rodata,"a",@progbits
	.p2align	6, 0x0
	.amdhsa_kernel _ZN2at6native32tensor_kernel_scan_innermost_dimIiSt10multipliesIiEEEvPT_PKS4_jjjS4_T0_
		.amdhsa_group_segment_fixed_size 0
		.amdhsa_private_segment_fixed_size 0
		.amdhsa_kernarg_size 296
		.amdhsa_user_sgpr_count 2
		.amdhsa_user_sgpr_dispatch_ptr 0
		.amdhsa_user_sgpr_queue_ptr 0
		.amdhsa_user_sgpr_kernarg_segment_ptr 1
		.amdhsa_user_sgpr_dispatch_id 0
		.amdhsa_user_sgpr_kernarg_preload_length 0
		.amdhsa_user_sgpr_kernarg_preload_offset 0
		.amdhsa_user_sgpr_private_segment_size 0
		.amdhsa_uses_dynamic_stack 0
		.amdhsa_enable_private_segment 0
		.amdhsa_system_sgpr_workgroup_id_x 1
		.amdhsa_system_sgpr_workgroup_id_y 0
		.amdhsa_system_sgpr_workgroup_id_z 0
		.amdhsa_system_sgpr_workgroup_info 0
		.amdhsa_system_vgpr_workitem_id 1
		.amdhsa_next_free_vgpr 24
		.amdhsa_next_free_sgpr 34
		.amdhsa_accum_offset 24
		.amdhsa_reserve_vcc 1
		.amdhsa_float_round_mode_32 0
		.amdhsa_float_round_mode_16_64 0
		.amdhsa_float_denorm_mode_32 3
		.amdhsa_float_denorm_mode_16_64 3
		.amdhsa_dx10_clamp 1
		.amdhsa_ieee_mode 1
		.amdhsa_fp16_overflow 0
		.amdhsa_tg_split 0
		.amdhsa_exception_fp_ieee_invalid_op 0
		.amdhsa_exception_fp_denorm_src 0
		.amdhsa_exception_fp_ieee_div_zero 0
		.amdhsa_exception_fp_ieee_overflow 0
		.amdhsa_exception_fp_ieee_underflow 0
		.amdhsa_exception_fp_ieee_inexact 0
		.amdhsa_exception_int_div_zero 0
	.end_amdhsa_kernel
	.section	.text._ZN2at6native32tensor_kernel_scan_innermost_dimIiSt10multipliesIiEEEvPT_PKS4_jjjS4_T0_,"axG",@progbits,_ZN2at6native32tensor_kernel_scan_innermost_dimIiSt10multipliesIiEEEvPT_PKS4_jjjS4_T0_,comdat
.Lfunc_end24:
	.size	_ZN2at6native32tensor_kernel_scan_innermost_dimIiSt10multipliesIiEEEvPT_PKS4_jjjS4_T0_, .Lfunc_end24-_ZN2at6native32tensor_kernel_scan_innermost_dimIiSt10multipliesIiEEEvPT_PKS4_jjjS4_T0_
                                        ; -- End function
	.section	.AMDGPU.csdata,"",@progbits
; Kernel info:
; codeLenInByte = 1640
; NumSgprs: 40
; NumVgprs: 24
; NumAgprs: 0
; TotalNumVgprs: 24
; ScratchSize: 0
; MemoryBound: 0
; FloatMode: 240
; IeeeMode: 1
; LDSByteSize: 0 bytes/workgroup (compile time only)
; SGPRBlocks: 4
; VGPRBlocks: 2
; NumSGPRsForWavesPerEU: 40
; NumVGPRsForWavesPerEU: 24
; AccumOffset: 24
; Occupancy: 8
; WaveLimiterHint : 0
; COMPUTE_PGM_RSRC2:SCRATCH_EN: 0
; COMPUTE_PGM_RSRC2:USER_SGPR: 2
; COMPUTE_PGM_RSRC2:TRAP_HANDLER: 0
; COMPUTE_PGM_RSRC2:TGID_X_EN: 1
; COMPUTE_PGM_RSRC2:TGID_Y_EN: 0
; COMPUTE_PGM_RSRC2:TGID_Z_EN: 0
; COMPUTE_PGM_RSRC2:TIDIG_COMP_CNT: 1
; COMPUTE_PGM_RSRC3_GFX90A:ACCUM_OFFSET: 5
; COMPUTE_PGM_RSRC3_GFX90A:TG_SPLIT: 0
	.section	.text._ZN2at6native28tensor_kernel_scan_outer_dimIijSt10multipliesIiEEEvPT_PKS4_jjjS4_T1_,"axG",@progbits,_ZN2at6native28tensor_kernel_scan_outer_dimIijSt10multipliesIiEEEvPT_PKS4_jjjS4_T1_,comdat
	.protected	_ZN2at6native28tensor_kernel_scan_outer_dimIijSt10multipliesIiEEEvPT_PKS4_jjjS4_T1_ ; -- Begin function _ZN2at6native28tensor_kernel_scan_outer_dimIijSt10multipliesIiEEEvPT_PKS4_jjjS4_T1_
	.globl	_ZN2at6native28tensor_kernel_scan_outer_dimIijSt10multipliesIiEEEvPT_PKS4_jjjS4_T1_
	.p2align	8
	.type	_ZN2at6native28tensor_kernel_scan_outer_dimIijSt10multipliesIiEEEvPT_PKS4_jjjS4_T1_,@function
_ZN2at6native28tensor_kernel_scan_outer_dimIijSt10multipliesIiEEEvPT_PKS4_jjjS4_T1_: ; @_ZN2at6native28tensor_kernel_scan_outer_dimIijSt10multipliesIiEEEvPT_PKS4_jjjS4_T1_
; %bb.0:
	s_load_dwordx4 s[8:11], s[0:1], 0x10
	s_waitcnt lgkmcnt(0)
	s_cmp_ge_u32 s2, s8
	s_cbranch_scc1 .LBB25_9
; %bb.1:
	s_load_dword s4, s[0:1], 0x34
	s_load_dwordx4 s[12:15], s[0:1], 0x0
	s_load_dword s26, s[0:1], 0x28
	s_add_u32 s6, s0, 40
	s_addc_u32 s7, s1, 0
	s_waitcnt lgkmcnt(0)
	s_and_b32 s27, s4, 0xffff
	s_mul_i32 s3, s3, s27
	s_cmp_lg_u32 s10, 0
	v_add_u32_e32 v4, s3, v0
	s_mul_i32 s3, s2, s10
	s_cselect_b64 s[4:5], -1, 0
	s_mov_b32 s17, 0
	s_mov_b32 s16, s9
	s_mul_i32 s20, s3, s9
	s_mul_i32 s3, s26, s10
	v_cndmask_b32_e64 v0, 0, 1, s[4:5]
	v_cmp_gt_u32_e64 s[0:1], s9, v4
	s_mul_i32 s3, s3, s9
	s_lshl_b64 s[18:19], s[16:17], 2
	v_cmp_ne_u32_e64 s[4:5], 1, v0
	v_mov_b32_e32 v1, 0
	s_mov_b32 s16, s20
	s_branch .LBB25_3
.LBB25_2:                               ;   in Loop: Header=BB25_3 Depth=1
	s_or_b64 exec, exec, s[20:21]
	s_add_i32 s2, s26, s2
	s_add_i32 s16, s16, s3
	s_cmp_ge_u32 s2, s8
	s_cbranch_scc1 .LBB25_9
.LBB25_3:                               ; =>This Loop Header: Depth=1
                                        ;     Child Loop BB25_6 Depth 2
                                        ;       Child Loop BB25_8 Depth 3
	s_and_saveexec_b64 s[20:21], s[0:1]
	s_cbranch_execz .LBB25_2
; %bb.4:                                ;   in Loop: Header=BB25_3 Depth=1
	s_load_dword s28, s[6:7], 0x4
	s_lshl_b64 s[22:23], s[16:17], 2
	s_mov_b64 s[24:25], 0
	v_mov_b32_e32 v0, v4
	s_waitcnt lgkmcnt(0)
	s_mul_i32 s28, s28, s27
	s_branch .LBB25_6
.LBB25_5:                               ;   in Loop: Header=BB25_6 Depth=2
	v_add_u32_e32 v0, s28, v0
	v_cmp_le_u32_e32 vcc, s9, v0
	s_or_b64 s[24:25], vcc, s[24:25]
	s_andn2_b64 exec, exec, s[24:25]
	s_cbranch_execz .LBB25_2
.LBB25_6:                               ;   Parent Loop BB25_3 Depth=1
                                        ; =>  This Loop Header: Depth=2
                                        ;       Child Loop BB25_8 Depth 3
	s_and_b64 vcc, exec, s[4:5]
	s_cbranch_vccnz .LBB25_5
; %bb.7:                                ;   in Loop: Header=BB25_6 Depth=2
	v_lshl_add_u64 v[2:3], v[0:1], 2, s[22:23]
	v_mov_b32_e32 v5, s11
	s_mov_b32 s29, s10
.LBB25_8:                               ;   Parent Loop BB25_3 Depth=1
                                        ;     Parent Loop BB25_6 Depth=2
                                        ; =>    This Inner Loop Header: Depth=3
	v_lshl_add_u64 v[6:7], s[14:15], 0, v[2:3]
	global_load_dword v8, v[6:7], off
	s_add_i32 s29, s29, -1
	v_lshl_add_u64 v[6:7], s[12:13], 0, v[2:3]
	v_lshl_add_u64 v[2:3], v[2:3], 0, s[18:19]
	s_cmp_eq_u32 s29, 0
	s_waitcnt vmcnt(0)
	v_mul_lo_u32 v5, v8, v5
	global_store_dword v[6:7], v5, off
	s_cbranch_scc0 .LBB25_8
	s_branch .LBB25_5
.LBB25_9:
	s_endpgm
	.section	.rodata,"a",@progbits
	.p2align	6, 0x0
	.amdhsa_kernel _ZN2at6native28tensor_kernel_scan_outer_dimIijSt10multipliesIiEEEvPT_PKS4_jjjS4_T1_
		.amdhsa_group_segment_fixed_size 0
		.amdhsa_private_segment_fixed_size 0
		.amdhsa_kernarg_size 296
		.amdhsa_user_sgpr_count 2
		.amdhsa_user_sgpr_dispatch_ptr 0
		.amdhsa_user_sgpr_queue_ptr 0
		.amdhsa_user_sgpr_kernarg_segment_ptr 1
		.amdhsa_user_sgpr_dispatch_id 0
		.amdhsa_user_sgpr_kernarg_preload_length 0
		.amdhsa_user_sgpr_kernarg_preload_offset 0
		.amdhsa_user_sgpr_private_segment_size 0
		.amdhsa_uses_dynamic_stack 0
		.amdhsa_enable_private_segment 0
		.amdhsa_system_sgpr_workgroup_id_x 1
		.amdhsa_system_sgpr_workgroup_id_y 1
		.amdhsa_system_sgpr_workgroup_id_z 0
		.amdhsa_system_sgpr_workgroup_info 0
		.amdhsa_system_vgpr_workitem_id 0
		.amdhsa_next_free_vgpr 9
		.amdhsa_next_free_sgpr 30
		.amdhsa_accum_offset 12
		.amdhsa_reserve_vcc 1
		.amdhsa_float_round_mode_32 0
		.amdhsa_float_round_mode_16_64 0
		.amdhsa_float_denorm_mode_32 3
		.amdhsa_float_denorm_mode_16_64 3
		.amdhsa_dx10_clamp 1
		.amdhsa_ieee_mode 1
		.amdhsa_fp16_overflow 0
		.amdhsa_tg_split 0
		.amdhsa_exception_fp_ieee_invalid_op 0
		.amdhsa_exception_fp_denorm_src 0
		.amdhsa_exception_fp_ieee_div_zero 0
		.amdhsa_exception_fp_ieee_overflow 0
		.amdhsa_exception_fp_ieee_underflow 0
		.amdhsa_exception_fp_ieee_inexact 0
		.amdhsa_exception_int_div_zero 0
	.end_amdhsa_kernel
	.section	.text._ZN2at6native28tensor_kernel_scan_outer_dimIijSt10multipliesIiEEEvPT_PKS4_jjjS4_T1_,"axG",@progbits,_ZN2at6native28tensor_kernel_scan_outer_dimIijSt10multipliesIiEEEvPT_PKS4_jjjS4_T1_,comdat
.Lfunc_end25:
	.size	_ZN2at6native28tensor_kernel_scan_outer_dimIijSt10multipliesIiEEEvPT_PKS4_jjjS4_T1_, .Lfunc_end25-_ZN2at6native28tensor_kernel_scan_outer_dimIijSt10multipliesIiEEEvPT_PKS4_jjjS4_T1_
                                        ; -- End function
	.section	.AMDGPU.csdata,"",@progbits
; Kernel info:
; codeLenInByte = 320
; NumSgprs: 36
; NumVgprs: 9
; NumAgprs: 0
; TotalNumVgprs: 9
; ScratchSize: 0
; MemoryBound: 0
; FloatMode: 240
; IeeeMode: 1
; LDSByteSize: 0 bytes/workgroup (compile time only)
; SGPRBlocks: 4
; VGPRBlocks: 1
; NumSGPRsForWavesPerEU: 36
; NumVGPRsForWavesPerEU: 9
; AccumOffset: 12
; Occupancy: 8
; WaveLimiterHint : 0
; COMPUTE_PGM_RSRC2:SCRATCH_EN: 0
; COMPUTE_PGM_RSRC2:USER_SGPR: 2
; COMPUTE_PGM_RSRC2:TRAP_HANDLER: 0
; COMPUTE_PGM_RSRC2:TGID_X_EN: 1
; COMPUTE_PGM_RSRC2:TGID_Y_EN: 1
; COMPUTE_PGM_RSRC2:TGID_Z_EN: 0
; COMPUTE_PGM_RSRC2:TIDIG_COMP_CNT: 0
; COMPUTE_PGM_RSRC3_GFX90A:ACCUM_OFFSET: 2
; COMPUTE_PGM_RSRC3_GFX90A:TG_SPLIT: 0
	.section	.text._ZN2at6native28tensor_kernel_scan_outer_dimIimSt10multipliesIiEEEvPT_PKS4_jjjS4_T1_,"axG",@progbits,_ZN2at6native28tensor_kernel_scan_outer_dimIimSt10multipliesIiEEEvPT_PKS4_jjjS4_T1_,comdat
	.protected	_ZN2at6native28tensor_kernel_scan_outer_dimIimSt10multipliesIiEEEvPT_PKS4_jjjS4_T1_ ; -- Begin function _ZN2at6native28tensor_kernel_scan_outer_dimIimSt10multipliesIiEEEvPT_PKS4_jjjS4_T1_
	.globl	_ZN2at6native28tensor_kernel_scan_outer_dimIimSt10multipliesIiEEEvPT_PKS4_jjjS4_T1_
	.p2align	8
	.type	_ZN2at6native28tensor_kernel_scan_outer_dimIimSt10multipliesIiEEEvPT_PKS4_jjjS4_T1_,@function
_ZN2at6native28tensor_kernel_scan_outer_dimIimSt10multipliesIiEEEvPT_PKS4_jjjS4_T1_: ; @_ZN2at6native28tensor_kernel_scan_outer_dimIimSt10multipliesIiEEEvPT_PKS4_jjjS4_T1_
; %bb.0:
	s_load_dwordx4 s[8:11], s[0:1], 0x10
	s_waitcnt lgkmcnt(0)
	s_cmp_ge_u32 s2, s8
	s_cbranch_scc1 .LBB26_9
; %bb.1:
	s_load_dword s4, s[0:1], 0x34
	s_load_dwordx4 s[12:15], s[0:1], 0x0
	s_load_dword s26, s[0:1], 0x28
	s_add_u32 s6, s0, 40
	s_addc_u32 s7, s1, 0
	s_waitcnt lgkmcnt(0)
	s_and_b32 s27, s4, 0xffff
	s_cmp_lg_u32 s10, 0
	s_mul_i32 s3, s3, s27
	s_cselect_b64 s[20:21], -1, 0
	v_add_u32_e32 v4, s3, v0
	s_mov_b32 s5, 0
	s_mov_b32 s4, s9
	s_mul_hi_u32 s17, s10, s9
	s_mul_i32 s16, s10, s9
	v_cndmask_b32_e64 v0, 0, 1, s[20:21]
	v_cmp_gt_u32_e64 s[0:1], s9, v4
	s_lshl_b64 s[16:17], s[16:17], 2
	s_lshl_b64 s[18:19], s[4:5], 2
	v_cmp_ne_u32_e64 s[4:5], 1, v0
	v_mov_b32_e32 v1, 0
	s_branch .LBB26_3
.LBB26_2:                               ;   in Loop: Header=BB26_3 Depth=1
	s_or_b64 exec, exec, s[20:21]
	s_add_i32 s2, s2, s26
	s_cmp_ge_u32 s2, s8
	s_cbranch_scc1 .LBB26_9
.LBB26_3:                               ; =>This Loop Header: Depth=1
                                        ;     Child Loop BB26_6 Depth 2
                                        ;       Child Loop BB26_8 Depth 3
	s_and_saveexec_b64 s[20:21], s[0:1]
	s_cbranch_execz .LBB26_2
; %bb.4:                                ;   in Loop: Header=BB26_3 Depth=1
	s_load_dword s3, s[6:7], 0x4
	s_mul_i32 s23, s17, s2
	s_mul_hi_u32 s24, s16, s2
	s_mul_i32 s22, s16, s2
	s_add_i32 s23, s24, s23
	s_waitcnt lgkmcnt(0)
	s_mul_i32 s3, s3, s27
	s_mov_b64 s[24:25], 0
	v_mov_b32_e32 v0, v4
	s_branch .LBB26_6
.LBB26_5:                               ;   in Loop: Header=BB26_6 Depth=2
	v_add_u32_e32 v0, s3, v0
	v_cmp_le_u32_e32 vcc, s9, v0
	s_or_b64 s[24:25], vcc, s[24:25]
	s_andn2_b64 exec, exec, s[24:25]
	s_cbranch_execz .LBB26_2
.LBB26_6:                               ;   Parent Loop BB26_3 Depth=1
                                        ; =>  This Loop Header: Depth=2
                                        ;       Child Loop BB26_8 Depth 3
	s_and_b64 vcc, exec, s[4:5]
	s_cbranch_vccnz .LBB26_5
; %bb.7:                                ;   in Loop: Header=BB26_6 Depth=2
	v_lshl_add_u64 v[2:3], v[0:1], 2, s[22:23]
	v_mov_b32_e32 v5, s11
	s_mov_b32 s28, s10
.LBB26_8:                               ;   Parent Loop BB26_3 Depth=1
                                        ;     Parent Loop BB26_6 Depth=2
                                        ; =>    This Inner Loop Header: Depth=3
	v_lshl_add_u64 v[6:7], s[14:15], 0, v[2:3]
	global_load_dword v8, v[6:7], off
	s_add_i32 s28, s28, -1
	v_lshl_add_u64 v[6:7], s[12:13], 0, v[2:3]
	v_lshl_add_u64 v[2:3], v[2:3], 0, s[18:19]
	s_cmp_eq_u32 s28, 0
	s_waitcnt vmcnt(0)
	v_mul_lo_u32 v5, v8, v5
	global_store_dword v[6:7], v5, off
	s_cbranch_scc0 .LBB26_8
	s_branch .LBB26_5
.LBB26_9:
	s_endpgm
	.section	.rodata,"a",@progbits
	.p2align	6, 0x0
	.amdhsa_kernel _ZN2at6native28tensor_kernel_scan_outer_dimIimSt10multipliesIiEEEvPT_PKS4_jjjS4_T1_
		.amdhsa_group_segment_fixed_size 0
		.amdhsa_private_segment_fixed_size 0
		.amdhsa_kernarg_size 296
		.amdhsa_user_sgpr_count 2
		.amdhsa_user_sgpr_dispatch_ptr 0
		.amdhsa_user_sgpr_queue_ptr 0
		.amdhsa_user_sgpr_kernarg_segment_ptr 1
		.amdhsa_user_sgpr_dispatch_id 0
		.amdhsa_user_sgpr_kernarg_preload_length 0
		.amdhsa_user_sgpr_kernarg_preload_offset 0
		.amdhsa_user_sgpr_private_segment_size 0
		.amdhsa_uses_dynamic_stack 0
		.amdhsa_enable_private_segment 0
		.amdhsa_system_sgpr_workgroup_id_x 1
		.amdhsa_system_sgpr_workgroup_id_y 1
		.amdhsa_system_sgpr_workgroup_id_z 0
		.amdhsa_system_sgpr_workgroup_info 0
		.amdhsa_system_vgpr_workitem_id 0
		.amdhsa_next_free_vgpr 9
		.amdhsa_next_free_sgpr 29
		.amdhsa_accum_offset 12
		.amdhsa_reserve_vcc 1
		.amdhsa_float_round_mode_32 0
		.amdhsa_float_round_mode_16_64 0
		.amdhsa_float_denorm_mode_32 3
		.amdhsa_float_denorm_mode_16_64 3
		.amdhsa_dx10_clamp 1
		.amdhsa_ieee_mode 1
		.amdhsa_fp16_overflow 0
		.amdhsa_tg_split 0
		.amdhsa_exception_fp_ieee_invalid_op 0
		.amdhsa_exception_fp_denorm_src 0
		.amdhsa_exception_fp_ieee_div_zero 0
		.amdhsa_exception_fp_ieee_overflow 0
		.amdhsa_exception_fp_ieee_underflow 0
		.amdhsa_exception_fp_ieee_inexact 0
		.amdhsa_exception_int_div_zero 0
	.end_amdhsa_kernel
	.section	.text._ZN2at6native28tensor_kernel_scan_outer_dimIimSt10multipliesIiEEEvPT_PKS4_jjjS4_T1_,"axG",@progbits,_ZN2at6native28tensor_kernel_scan_outer_dimIimSt10multipliesIiEEEvPT_PKS4_jjjS4_T1_,comdat
.Lfunc_end26:
	.size	_ZN2at6native28tensor_kernel_scan_outer_dimIimSt10multipliesIiEEEvPT_PKS4_jjjS4_T1_, .Lfunc_end26-_ZN2at6native28tensor_kernel_scan_outer_dimIimSt10multipliesIiEEEvPT_PKS4_jjjS4_T1_
                                        ; -- End function
	.section	.AMDGPU.csdata,"",@progbits
; Kernel info:
; codeLenInByte = 320
; NumSgprs: 35
; NumVgprs: 9
; NumAgprs: 0
; TotalNumVgprs: 9
; ScratchSize: 0
; MemoryBound: 0
; FloatMode: 240
; IeeeMode: 1
; LDSByteSize: 0 bytes/workgroup (compile time only)
; SGPRBlocks: 4
; VGPRBlocks: 1
; NumSGPRsForWavesPerEU: 35
; NumVGPRsForWavesPerEU: 9
; AccumOffset: 12
; Occupancy: 8
; WaveLimiterHint : 0
; COMPUTE_PGM_RSRC2:SCRATCH_EN: 0
; COMPUTE_PGM_RSRC2:USER_SGPR: 2
; COMPUTE_PGM_RSRC2:TRAP_HANDLER: 0
; COMPUTE_PGM_RSRC2:TGID_X_EN: 1
; COMPUTE_PGM_RSRC2:TGID_Y_EN: 1
; COMPUTE_PGM_RSRC2:TGID_Z_EN: 0
; COMPUTE_PGM_RSRC2:TIDIG_COMP_CNT: 0
; COMPUTE_PGM_RSRC3_GFX90A:ACCUM_OFFSET: 2
; COMPUTE_PGM_RSRC3_GFX90A:TG_SPLIT: 0
	.section	.text._ZN7rocprim17ROCPRIM_304000_NS6detail31init_lookback_scan_state_kernelINS1_19lookback_scan_stateIlLb1ELb1EEEEEvT_jjPNS5_10value_typeE,"axG",@progbits,_ZN7rocprim17ROCPRIM_304000_NS6detail31init_lookback_scan_state_kernelINS1_19lookback_scan_stateIlLb1ELb1EEEEEvT_jjPNS5_10value_typeE,comdat
	.protected	_ZN7rocprim17ROCPRIM_304000_NS6detail31init_lookback_scan_state_kernelINS1_19lookback_scan_stateIlLb1ELb1EEEEEvT_jjPNS5_10value_typeE ; -- Begin function _ZN7rocprim17ROCPRIM_304000_NS6detail31init_lookback_scan_state_kernelINS1_19lookback_scan_stateIlLb1ELb1EEEEEvT_jjPNS5_10value_typeE
	.globl	_ZN7rocprim17ROCPRIM_304000_NS6detail31init_lookback_scan_state_kernelINS1_19lookback_scan_stateIlLb1ELb1EEEEEvT_jjPNS5_10value_typeE
	.p2align	8
	.type	_ZN7rocprim17ROCPRIM_304000_NS6detail31init_lookback_scan_state_kernelINS1_19lookback_scan_stateIlLb1ELb1EEEEEvT_jjPNS5_10value_typeE,@function
_ZN7rocprim17ROCPRIM_304000_NS6detail31init_lookback_scan_state_kernelINS1_19lookback_scan_stateIlLb1ELb1EEEEEvT_jjPNS5_10value_typeE: ; @_ZN7rocprim17ROCPRIM_304000_NS6detail31init_lookback_scan_state_kernelINS1_19lookback_scan_stateIlLb1ELb1EEEEEvT_jjPNS5_10value_typeE
; %bb.0:
	s_load_dword s3, s[0:1], 0x24
	s_load_dwordx2 s[8:9], s[0:1], 0x10
	s_load_dwordx4 s[4:7], s[0:1], 0x0
	s_waitcnt lgkmcnt(0)
	s_and_b32 s0, s3, 0xffff
	s_mul_i32 s2, s2, s0
	s_cmp_eq_u64 s[8:9], 0
	v_add_u32_e32 v0, s2, v0
	s_cbranch_scc1 .LBB27_10
; %bb.1:
	s_cmp_lt_u32 s7, s6
	s_cselect_b32 s0, s7, 0
	s_mov_b32 s3, 0
	v_cmp_eq_u32_e32 vcc, s0, v0
	s_and_saveexec_b64 s[0:1], vcc
	s_cbranch_execz .LBB27_9
; %bb.2:
	s_add_i32 s2, s7, 64
	s_lshl_b64 s[2:3], s[2:3], 4
	s_add_u32 s12, s4, s2
	s_addc_u32 s13, s5, s3
	v_mov_b64_e32 v[2:3], s[12:13]
	;;#ASMSTART
	global_load_dwordx4 v[2:5], v[2:3] off sc1	
s_waitcnt vmcnt(0)
	;;#ASMEND
	v_mov_b32_e32 v7, 0
	v_and_b32_e32 v6, 0xff, v4
	s_mov_b64 s[10:11], 0
	v_cmp_eq_u64_e32 vcc, 0, v[6:7]
	s_and_saveexec_b64 s[2:3], vcc
	s_cbranch_execz .LBB27_8
; %bb.3:
	s_mov_b32 s7, 1
	v_mov_b64_e32 v[8:9], s[12:13]
.LBB27_4:                               ; =>This Loop Header: Depth=1
                                        ;     Child Loop BB27_5 Depth 2
	s_max_u32 s12, s7, 1
.LBB27_5:                               ;   Parent Loop BB27_4 Depth=1
                                        ; =>  This Inner Loop Header: Depth=2
	s_add_i32 s12, s12, -1
	s_cmp_eq_u32 s12, 0
	s_sleep 1
	s_cbranch_scc0 .LBB27_5
; %bb.6:                                ;   in Loop: Header=BB27_4 Depth=1
	s_cmp_lt_u32 s7, 32
	s_cselect_b64 s[12:13], -1, 0
	s_cmp_lg_u64 s[12:13], 0
	;;#ASMSTART
	global_load_dwordx4 v[2:5], v[8:9] off sc1	
s_waitcnt vmcnt(0)
	;;#ASMEND
	s_addc_u32 s7, s7, 0
	v_and_b32_e32 v6, 0xff, v4
	v_cmp_ne_u64_e32 vcc, 0, v[6:7]
	s_or_b64 s[10:11], vcc, s[10:11]
	s_andn2_b64 exec, exec, s[10:11]
	s_cbranch_execnz .LBB27_4
; %bb.7:
	s_or_b64 exec, exec, s[10:11]
.LBB27_8:
	s_or_b64 exec, exec, s[2:3]
	v_mov_b32_e32 v1, 0
	global_store_dwordx2 v1, v[2:3], s[8:9]
.LBB27_9:
	s_or_b64 exec, exec, s[0:1]
.LBB27_10:
	v_cmp_gt_u32_e32 vcc, s6, v0
	s_and_saveexec_b64 s[0:1], vcc
	s_cbranch_execnz .LBB27_13
; %bb.11:
	s_or_b64 exec, exec, s[0:1]
	v_cmp_gt_u32_e32 vcc, 64, v0
	s_and_saveexec_b64 s[0:1], vcc
	s_cbranch_execnz .LBB27_14
.LBB27_12:
	s_endpgm
.LBB27_13:
	v_add_u32_e32 v2, 64, v0
	v_mov_b32_e32 v3, 0
	v_lshl_add_u64 v[6:7], v[2:3], 4, s[4:5]
	v_mov_b32_e32 v2, v3
	v_mov_b32_e32 v4, v3
	;; [unrolled: 1-line block ×3, first 2 shown]
	global_store_dwordx4 v[6:7], v[2:5], off
	s_or_b64 exec, exec, s[0:1]
	v_cmp_gt_u32_e32 vcc, 64, v0
	s_and_saveexec_b64 s[0:1], vcc
	s_cbranch_execz .LBB27_12
.LBB27_14:
	v_mov_b32_e32 v1, 0
	v_lshl_add_u64 v[4:5], v[0:1], 4, s[4:5]
	v_mov_b32_e32 v2, 0xff
	v_mov_b32_e32 v0, v1
	;; [unrolled: 1-line block ×3, first 2 shown]
	global_store_dwordx4 v[4:5], v[0:3], off
	s_endpgm
	.section	.rodata,"a",@progbits
	.p2align	6, 0x0
	.amdhsa_kernel _ZN7rocprim17ROCPRIM_304000_NS6detail31init_lookback_scan_state_kernelINS1_19lookback_scan_stateIlLb1ELb1EEEEEvT_jjPNS5_10value_typeE
		.amdhsa_group_segment_fixed_size 0
		.amdhsa_private_segment_fixed_size 0
		.amdhsa_kernarg_size 280
		.amdhsa_user_sgpr_count 2
		.amdhsa_user_sgpr_dispatch_ptr 0
		.amdhsa_user_sgpr_queue_ptr 0
		.amdhsa_user_sgpr_kernarg_segment_ptr 1
		.amdhsa_user_sgpr_dispatch_id 0
		.amdhsa_user_sgpr_kernarg_preload_length 0
		.amdhsa_user_sgpr_kernarg_preload_offset 0
		.amdhsa_user_sgpr_private_segment_size 0
		.amdhsa_uses_dynamic_stack 0
		.amdhsa_enable_private_segment 0
		.amdhsa_system_sgpr_workgroup_id_x 1
		.amdhsa_system_sgpr_workgroup_id_y 0
		.amdhsa_system_sgpr_workgroup_id_z 0
		.amdhsa_system_sgpr_workgroup_info 0
		.amdhsa_system_vgpr_workitem_id 0
		.amdhsa_next_free_vgpr 10
		.amdhsa_next_free_sgpr 14
		.amdhsa_accum_offset 12
		.amdhsa_reserve_vcc 1
		.amdhsa_float_round_mode_32 0
		.amdhsa_float_round_mode_16_64 0
		.amdhsa_float_denorm_mode_32 3
		.amdhsa_float_denorm_mode_16_64 3
		.amdhsa_dx10_clamp 1
		.amdhsa_ieee_mode 1
		.amdhsa_fp16_overflow 0
		.amdhsa_tg_split 0
		.amdhsa_exception_fp_ieee_invalid_op 0
		.amdhsa_exception_fp_denorm_src 0
		.amdhsa_exception_fp_ieee_div_zero 0
		.amdhsa_exception_fp_ieee_overflow 0
		.amdhsa_exception_fp_ieee_underflow 0
		.amdhsa_exception_fp_ieee_inexact 0
		.amdhsa_exception_int_div_zero 0
	.end_amdhsa_kernel
	.section	.text._ZN7rocprim17ROCPRIM_304000_NS6detail31init_lookback_scan_state_kernelINS1_19lookback_scan_stateIlLb1ELb1EEEEEvT_jjPNS5_10value_typeE,"axG",@progbits,_ZN7rocprim17ROCPRIM_304000_NS6detail31init_lookback_scan_state_kernelINS1_19lookback_scan_stateIlLb1ELb1EEEEEvT_jjPNS5_10value_typeE,comdat
.Lfunc_end27:
	.size	_ZN7rocprim17ROCPRIM_304000_NS6detail31init_lookback_scan_state_kernelINS1_19lookback_scan_stateIlLb1ELb1EEEEEvT_jjPNS5_10value_typeE, .Lfunc_end27-_ZN7rocprim17ROCPRIM_304000_NS6detail31init_lookback_scan_state_kernelINS1_19lookback_scan_stateIlLb1ELb1EEEEEvT_jjPNS5_10value_typeE
                                        ; -- End function
	.section	.AMDGPU.csdata,"",@progbits
; Kernel info:
; codeLenInByte = 372
; NumSgprs: 20
; NumVgprs: 10
; NumAgprs: 0
; TotalNumVgprs: 10
; ScratchSize: 0
; MemoryBound: 0
; FloatMode: 240
; IeeeMode: 1
; LDSByteSize: 0 bytes/workgroup (compile time only)
; SGPRBlocks: 2
; VGPRBlocks: 1
; NumSGPRsForWavesPerEU: 20
; NumVGPRsForWavesPerEU: 10
; AccumOffset: 12
; Occupancy: 8
; WaveLimiterHint : 0
; COMPUTE_PGM_RSRC2:SCRATCH_EN: 0
; COMPUTE_PGM_RSRC2:USER_SGPR: 2
; COMPUTE_PGM_RSRC2:TRAP_HANDLER: 0
; COMPUTE_PGM_RSRC2:TGID_X_EN: 1
; COMPUTE_PGM_RSRC2:TGID_Y_EN: 0
; COMPUTE_PGM_RSRC2:TGID_Z_EN: 0
; COMPUTE_PGM_RSRC2:TIDIG_COMP_CNT: 0
; COMPUTE_PGM_RSRC3_GFX90A:ACCUM_OFFSET: 2
; COMPUTE_PGM_RSRC3_GFX90A:TG_SPLIT: 0
	.section	.text._ZN7rocprim17ROCPRIM_304000_NS6detail31init_lookback_scan_state_kernelINS1_19lookback_scan_stateIlLb0ELb1EEEEEvT_jjPNS5_10value_typeE,"axG",@progbits,_ZN7rocprim17ROCPRIM_304000_NS6detail31init_lookback_scan_state_kernelINS1_19lookback_scan_stateIlLb0ELb1EEEEEvT_jjPNS5_10value_typeE,comdat
	.protected	_ZN7rocprim17ROCPRIM_304000_NS6detail31init_lookback_scan_state_kernelINS1_19lookback_scan_stateIlLb0ELb1EEEEEvT_jjPNS5_10value_typeE ; -- Begin function _ZN7rocprim17ROCPRIM_304000_NS6detail31init_lookback_scan_state_kernelINS1_19lookback_scan_stateIlLb0ELb1EEEEEvT_jjPNS5_10value_typeE
	.globl	_ZN7rocprim17ROCPRIM_304000_NS6detail31init_lookback_scan_state_kernelINS1_19lookback_scan_stateIlLb0ELb1EEEEEvT_jjPNS5_10value_typeE
	.p2align	8
	.type	_ZN7rocprim17ROCPRIM_304000_NS6detail31init_lookback_scan_state_kernelINS1_19lookback_scan_stateIlLb0ELb1EEEEEvT_jjPNS5_10value_typeE,@function
_ZN7rocprim17ROCPRIM_304000_NS6detail31init_lookback_scan_state_kernelINS1_19lookback_scan_stateIlLb0ELb1EEEEEvT_jjPNS5_10value_typeE: ; @_ZN7rocprim17ROCPRIM_304000_NS6detail31init_lookback_scan_state_kernelINS1_19lookback_scan_stateIlLb0ELb1EEEEEvT_jjPNS5_10value_typeE
; %bb.0:
	s_load_dword s3, s[0:1], 0x24
	s_load_dwordx2 s[8:9], s[0:1], 0x10
	s_load_dwordx4 s[4:7], s[0:1], 0x0
	s_waitcnt lgkmcnt(0)
	s_and_b32 s0, s3, 0xffff
	s_mul_i32 s2, s2, s0
	s_cmp_eq_u64 s[8:9], 0
	v_add_u32_e32 v0, s2, v0
	s_cbranch_scc1 .LBB28_8
; %bb.1:
	s_cmp_lt_u32 s7, s6
	s_cselect_b32 s0, s7, 0
	s_mov_b32 s3, 0
	v_cmp_eq_u32_e32 vcc, s0, v0
	s_and_saveexec_b64 s[0:1], vcc
	s_cbranch_execz .LBB28_7
; %bb.2:
	s_add_i32 s2, s7, 64
	s_lshl_b64 s[2:3], s[2:3], 4
	s_add_u32 s12, s4, s2
	s_addc_u32 s13, s5, s3
	v_mov_b64_e32 v[2:3], s[12:13]
	;;#ASMSTART
	global_load_dwordx4 v[2:5], v[2:3] off sc1	
s_waitcnt vmcnt(0)
	;;#ASMEND
	v_mov_b32_e32 v7, 0
	v_and_b32_e32 v6, 0xff, v4
	s_mov_b64 s[10:11], 0
	v_cmp_eq_u64_e32 vcc, 0, v[6:7]
	s_and_saveexec_b64 s[2:3], vcc
	s_cbranch_execz .LBB28_6
; %bb.3:
	v_mov_b64_e32 v[8:9], s[12:13]
.LBB28_4:                               ; =>This Inner Loop Header: Depth=1
	;;#ASMSTART
	global_load_dwordx4 v[2:5], v[8:9] off sc1	
s_waitcnt vmcnt(0)
	;;#ASMEND
	s_nop 0
	v_and_b32_e32 v6, 0xff, v4
	v_cmp_ne_u64_e32 vcc, 0, v[6:7]
	s_or_b64 s[10:11], vcc, s[10:11]
	s_andn2_b64 exec, exec, s[10:11]
	s_cbranch_execnz .LBB28_4
; %bb.5:
	s_or_b64 exec, exec, s[10:11]
.LBB28_6:
	s_or_b64 exec, exec, s[2:3]
	v_mov_b32_e32 v1, 0
	global_store_dwordx2 v1, v[2:3], s[8:9]
.LBB28_7:
	s_or_b64 exec, exec, s[0:1]
.LBB28_8:
	v_cmp_gt_u32_e32 vcc, s6, v0
	s_and_saveexec_b64 s[0:1], vcc
	s_cbranch_execnz .LBB28_11
; %bb.9:
	s_or_b64 exec, exec, s[0:1]
	v_cmp_gt_u32_e32 vcc, 64, v0
	s_and_saveexec_b64 s[0:1], vcc
	s_cbranch_execnz .LBB28_12
.LBB28_10:
	s_endpgm
.LBB28_11:
	v_add_u32_e32 v2, 64, v0
	v_mov_b32_e32 v3, 0
	v_lshl_add_u64 v[6:7], v[2:3], 4, s[4:5]
	v_mov_b32_e32 v2, v3
	v_mov_b32_e32 v4, v3
	v_mov_b32_e32 v5, v3
	global_store_dwordx4 v[6:7], v[2:5], off
	s_or_b64 exec, exec, s[0:1]
	v_cmp_gt_u32_e32 vcc, 64, v0
	s_and_saveexec_b64 s[0:1], vcc
	s_cbranch_execz .LBB28_10
.LBB28_12:
	v_mov_b32_e32 v1, 0
	v_lshl_add_u64 v[4:5], v[0:1], 4, s[4:5]
	v_mov_b32_e32 v2, 0xff
	v_mov_b32_e32 v0, v1
	v_mov_b32_e32 v3, v1
	global_store_dwordx4 v[4:5], v[0:3], off
	s_endpgm
	.section	.rodata,"a",@progbits
	.p2align	6, 0x0
	.amdhsa_kernel _ZN7rocprim17ROCPRIM_304000_NS6detail31init_lookback_scan_state_kernelINS1_19lookback_scan_stateIlLb0ELb1EEEEEvT_jjPNS5_10value_typeE
		.amdhsa_group_segment_fixed_size 0
		.amdhsa_private_segment_fixed_size 0
		.amdhsa_kernarg_size 280
		.amdhsa_user_sgpr_count 2
		.amdhsa_user_sgpr_dispatch_ptr 0
		.amdhsa_user_sgpr_queue_ptr 0
		.amdhsa_user_sgpr_kernarg_segment_ptr 1
		.amdhsa_user_sgpr_dispatch_id 0
		.amdhsa_user_sgpr_kernarg_preload_length 0
		.amdhsa_user_sgpr_kernarg_preload_offset 0
		.amdhsa_user_sgpr_private_segment_size 0
		.amdhsa_uses_dynamic_stack 0
		.amdhsa_enable_private_segment 0
		.amdhsa_system_sgpr_workgroup_id_x 1
		.amdhsa_system_sgpr_workgroup_id_y 0
		.amdhsa_system_sgpr_workgroup_id_z 0
		.amdhsa_system_sgpr_workgroup_info 0
		.amdhsa_system_vgpr_workitem_id 0
		.amdhsa_next_free_vgpr 10
		.amdhsa_next_free_sgpr 14
		.amdhsa_accum_offset 12
		.amdhsa_reserve_vcc 1
		.amdhsa_float_round_mode_32 0
		.amdhsa_float_round_mode_16_64 0
		.amdhsa_float_denorm_mode_32 3
		.amdhsa_float_denorm_mode_16_64 3
		.amdhsa_dx10_clamp 1
		.amdhsa_ieee_mode 1
		.amdhsa_fp16_overflow 0
		.amdhsa_tg_split 0
		.amdhsa_exception_fp_ieee_invalid_op 0
		.amdhsa_exception_fp_denorm_src 0
		.amdhsa_exception_fp_ieee_div_zero 0
		.amdhsa_exception_fp_ieee_overflow 0
		.amdhsa_exception_fp_ieee_underflow 0
		.amdhsa_exception_fp_ieee_inexact 0
		.amdhsa_exception_int_div_zero 0
	.end_amdhsa_kernel
	.section	.text._ZN7rocprim17ROCPRIM_304000_NS6detail31init_lookback_scan_state_kernelINS1_19lookback_scan_stateIlLb0ELb1EEEEEvT_jjPNS5_10value_typeE,"axG",@progbits,_ZN7rocprim17ROCPRIM_304000_NS6detail31init_lookback_scan_state_kernelINS1_19lookback_scan_stateIlLb0ELb1EEEEEvT_jjPNS5_10value_typeE,comdat
.Lfunc_end28:
	.size	_ZN7rocprim17ROCPRIM_304000_NS6detail31init_lookback_scan_state_kernelINS1_19lookback_scan_stateIlLb0ELb1EEEEEvT_jjPNS5_10value_typeE, .Lfunc_end28-_ZN7rocprim17ROCPRIM_304000_NS6detail31init_lookback_scan_state_kernelINS1_19lookback_scan_stateIlLb0ELb1EEEEEvT_jjPNS5_10value_typeE
                                        ; -- End function
	.section	.AMDGPU.csdata,"",@progbits
; Kernel info:
; codeLenInByte = 336
; NumSgprs: 20
; NumVgprs: 10
; NumAgprs: 0
; TotalNumVgprs: 10
; ScratchSize: 0
; MemoryBound: 0
; FloatMode: 240
; IeeeMode: 1
; LDSByteSize: 0 bytes/workgroup (compile time only)
; SGPRBlocks: 2
; VGPRBlocks: 1
; NumSGPRsForWavesPerEU: 20
; NumVGPRsForWavesPerEU: 10
; AccumOffset: 12
; Occupancy: 8
; WaveLimiterHint : 0
; COMPUTE_PGM_RSRC2:SCRATCH_EN: 0
; COMPUTE_PGM_RSRC2:USER_SGPR: 2
; COMPUTE_PGM_RSRC2:TRAP_HANDLER: 0
; COMPUTE_PGM_RSRC2:TGID_X_EN: 1
; COMPUTE_PGM_RSRC2:TGID_Y_EN: 0
; COMPUTE_PGM_RSRC2:TGID_Z_EN: 0
; COMPUTE_PGM_RSRC2:TIDIG_COMP_CNT: 0
; COMPUTE_PGM_RSRC3_GFX90A:ACCUM_OFFSET: 2
; COMPUTE_PGM_RSRC3_GFX90A:TG_SPLIT: 0
	.section	.text._ZN7rocprim17ROCPRIM_304000_NS6detail20lookback_scan_kernelILNS1_25lookback_scan_determinismE0ELb0ENS1_19wrapped_scan_configINS0_14default_configElEEPKlPlSt10multipliesIlEllNS1_19lookback_scan_stateIlLb1ELb1EEEEEvT2_T3_mT5_T4_T7_jPT6_SK_bb,"axG",@progbits,_ZN7rocprim17ROCPRIM_304000_NS6detail20lookback_scan_kernelILNS1_25lookback_scan_determinismE0ELb0ENS1_19wrapped_scan_configINS0_14default_configElEEPKlPlSt10multipliesIlEllNS1_19lookback_scan_stateIlLb1ELb1EEEEEvT2_T3_mT5_T4_T7_jPT6_SK_bb,comdat
	.protected	_ZN7rocprim17ROCPRIM_304000_NS6detail20lookback_scan_kernelILNS1_25lookback_scan_determinismE0ELb0ENS1_19wrapped_scan_configINS0_14default_configElEEPKlPlSt10multipliesIlEllNS1_19lookback_scan_stateIlLb1ELb1EEEEEvT2_T3_mT5_T4_T7_jPT6_SK_bb ; -- Begin function _ZN7rocprim17ROCPRIM_304000_NS6detail20lookback_scan_kernelILNS1_25lookback_scan_determinismE0ELb0ENS1_19wrapped_scan_configINS0_14default_configElEEPKlPlSt10multipliesIlEllNS1_19lookback_scan_stateIlLb1ELb1EEEEEvT2_T3_mT5_T4_T7_jPT6_SK_bb
	.globl	_ZN7rocprim17ROCPRIM_304000_NS6detail20lookback_scan_kernelILNS1_25lookback_scan_determinismE0ELb0ENS1_19wrapped_scan_configINS0_14default_configElEEPKlPlSt10multipliesIlEllNS1_19lookback_scan_stateIlLb1ELb1EEEEEvT2_T3_mT5_T4_T7_jPT6_SK_bb
	.p2align	8
	.type	_ZN7rocprim17ROCPRIM_304000_NS6detail20lookback_scan_kernelILNS1_25lookback_scan_determinismE0ELb0ENS1_19wrapped_scan_configINS0_14default_configElEEPKlPlSt10multipliesIlEllNS1_19lookback_scan_stateIlLb1ELb1EEEEEvT2_T3_mT5_T4_T7_jPT6_SK_bb,@function
_ZN7rocprim17ROCPRIM_304000_NS6detail20lookback_scan_kernelILNS1_25lookback_scan_determinismE0ELb0ENS1_19wrapped_scan_configINS0_14default_configElEEPKlPlSt10multipliesIlEllNS1_19lookback_scan_stateIlLb1ELb1EEEEEvT2_T3_mT5_T4_T7_jPT6_SK_bb: ; @_ZN7rocprim17ROCPRIM_304000_NS6detail20lookback_scan_kernelILNS1_25lookback_scan_determinismE0ELb0ENS1_19wrapped_scan_configINS0_14default_configElEEPKlPlSt10multipliesIlEllNS1_19lookback_scan_stateIlLb1ELb1EEEEEvT2_T3_mT5_T4_T7_jPT6_SK_bb
; %bb.0:
	s_endpgm
	.section	.rodata,"a",@progbits
	.p2align	6, 0x0
	.amdhsa_kernel _ZN7rocprim17ROCPRIM_304000_NS6detail20lookback_scan_kernelILNS1_25lookback_scan_determinismE0ELb0ENS1_19wrapped_scan_configINS0_14default_configElEEPKlPlSt10multipliesIlEllNS1_19lookback_scan_stateIlLb1ELb1EEEEEvT2_T3_mT5_T4_T7_jPT6_SK_bb
		.amdhsa_group_segment_fixed_size 0
		.amdhsa_private_segment_fixed_size 0
		.amdhsa_kernarg_size 76
		.amdhsa_user_sgpr_count 2
		.amdhsa_user_sgpr_dispatch_ptr 0
		.amdhsa_user_sgpr_queue_ptr 0
		.amdhsa_user_sgpr_kernarg_segment_ptr 1
		.amdhsa_user_sgpr_dispatch_id 0
		.amdhsa_user_sgpr_kernarg_preload_length 0
		.amdhsa_user_sgpr_kernarg_preload_offset 0
		.amdhsa_user_sgpr_private_segment_size 0
		.amdhsa_uses_dynamic_stack 0
		.amdhsa_enable_private_segment 0
		.amdhsa_system_sgpr_workgroup_id_x 1
		.amdhsa_system_sgpr_workgroup_id_y 0
		.amdhsa_system_sgpr_workgroup_id_z 0
		.amdhsa_system_sgpr_workgroup_info 0
		.amdhsa_system_vgpr_workitem_id 0
		.amdhsa_next_free_vgpr 1
		.amdhsa_next_free_sgpr 0
		.amdhsa_accum_offset 4
		.amdhsa_reserve_vcc 0
		.amdhsa_float_round_mode_32 0
		.amdhsa_float_round_mode_16_64 0
		.amdhsa_float_denorm_mode_32 3
		.amdhsa_float_denorm_mode_16_64 3
		.amdhsa_dx10_clamp 1
		.amdhsa_ieee_mode 1
		.amdhsa_fp16_overflow 0
		.amdhsa_tg_split 0
		.amdhsa_exception_fp_ieee_invalid_op 0
		.amdhsa_exception_fp_denorm_src 0
		.amdhsa_exception_fp_ieee_div_zero 0
		.amdhsa_exception_fp_ieee_overflow 0
		.amdhsa_exception_fp_ieee_underflow 0
		.amdhsa_exception_fp_ieee_inexact 0
		.amdhsa_exception_int_div_zero 0
	.end_amdhsa_kernel
	.section	.text._ZN7rocprim17ROCPRIM_304000_NS6detail20lookback_scan_kernelILNS1_25lookback_scan_determinismE0ELb0ENS1_19wrapped_scan_configINS0_14default_configElEEPKlPlSt10multipliesIlEllNS1_19lookback_scan_stateIlLb1ELb1EEEEEvT2_T3_mT5_T4_T7_jPT6_SK_bb,"axG",@progbits,_ZN7rocprim17ROCPRIM_304000_NS6detail20lookback_scan_kernelILNS1_25lookback_scan_determinismE0ELb0ENS1_19wrapped_scan_configINS0_14default_configElEEPKlPlSt10multipliesIlEllNS1_19lookback_scan_stateIlLb1ELb1EEEEEvT2_T3_mT5_T4_T7_jPT6_SK_bb,comdat
.Lfunc_end29:
	.size	_ZN7rocprim17ROCPRIM_304000_NS6detail20lookback_scan_kernelILNS1_25lookback_scan_determinismE0ELb0ENS1_19wrapped_scan_configINS0_14default_configElEEPKlPlSt10multipliesIlEllNS1_19lookback_scan_stateIlLb1ELb1EEEEEvT2_T3_mT5_T4_T7_jPT6_SK_bb, .Lfunc_end29-_ZN7rocprim17ROCPRIM_304000_NS6detail20lookback_scan_kernelILNS1_25lookback_scan_determinismE0ELb0ENS1_19wrapped_scan_configINS0_14default_configElEEPKlPlSt10multipliesIlEllNS1_19lookback_scan_stateIlLb1ELb1EEEEEvT2_T3_mT5_T4_T7_jPT6_SK_bb
                                        ; -- End function
	.section	.AMDGPU.csdata,"",@progbits
; Kernel info:
; codeLenInByte = 4
; NumSgprs: 6
; NumVgprs: 0
; NumAgprs: 0
; TotalNumVgprs: 0
; ScratchSize: 0
; MemoryBound: 0
; FloatMode: 240
; IeeeMode: 1
; LDSByteSize: 0 bytes/workgroup (compile time only)
; SGPRBlocks: 0
; VGPRBlocks: 0
; NumSGPRsForWavesPerEU: 6
; NumVGPRsForWavesPerEU: 1
; AccumOffset: 4
; Occupancy: 8
; WaveLimiterHint : 0
; COMPUTE_PGM_RSRC2:SCRATCH_EN: 0
; COMPUTE_PGM_RSRC2:USER_SGPR: 2
; COMPUTE_PGM_RSRC2:TRAP_HANDLER: 0
; COMPUTE_PGM_RSRC2:TGID_X_EN: 1
; COMPUTE_PGM_RSRC2:TGID_Y_EN: 0
; COMPUTE_PGM_RSRC2:TGID_Z_EN: 0
; COMPUTE_PGM_RSRC2:TIDIG_COMP_CNT: 0
; COMPUTE_PGM_RSRC3_GFX90A:ACCUM_OFFSET: 0
; COMPUTE_PGM_RSRC3_GFX90A:TG_SPLIT: 0
	.section	.text._ZN7rocprim17ROCPRIM_304000_NS6detail20lookback_scan_kernelILNS1_25lookback_scan_determinismE0ELb0ENS1_19wrapped_scan_configINS0_14default_configElEEPKlPlSt10multipliesIlEllNS1_19lookback_scan_stateIlLb0ELb1EEEEEvT2_T3_mT5_T4_T7_jPT6_SK_bb,"axG",@progbits,_ZN7rocprim17ROCPRIM_304000_NS6detail20lookback_scan_kernelILNS1_25lookback_scan_determinismE0ELb0ENS1_19wrapped_scan_configINS0_14default_configElEEPKlPlSt10multipliesIlEllNS1_19lookback_scan_stateIlLb0ELb1EEEEEvT2_T3_mT5_T4_T7_jPT6_SK_bb,comdat
	.protected	_ZN7rocprim17ROCPRIM_304000_NS6detail20lookback_scan_kernelILNS1_25lookback_scan_determinismE0ELb0ENS1_19wrapped_scan_configINS0_14default_configElEEPKlPlSt10multipliesIlEllNS1_19lookback_scan_stateIlLb0ELb1EEEEEvT2_T3_mT5_T4_T7_jPT6_SK_bb ; -- Begin function _ZN7rocprim17ROCPRIM_304000_NS6detail20lookback_scan_kernelILNS1_25lookback_scan_determinismE0ELb0ENS1_19wrapped_scan_configINS0_14default_configElEEPKlPlSt10multipliesIlEllNS1_19lookback_scan_stateIlLb0ELb1EEEEEvT2_T3_mT5_T4_T7_jPT6_SK_bb
	.globl	_ZN7rocprim17ROCPRIM_304000_NS6detail20lookback_scan_kernelILNS1_25lookback_scan_determinismE0ELb0ENS1_19wrapped_scan_configINS0_14default_configElEEPKlPlSt10multipliesIlEllNS1_19lookback_scan_stateIlLb0ELb1EEEEEvT2_T3_mT5_T4_T7_jPT6_SK_bb
	.p2align	8
	.type	_ZN7rocprim17ROCPRIM_304000_NS6detail20lookback_scan_kernelILNS1_25lookback_scan_determinismE0ELb0ENS1_19wrapped_scan_configINS0_14default_configElEEPKlPlSt10multipliesIlEllNS1_19lookback_scan_stateIlLb0ELb1EEEEEvT2_T3_mT5_T4_T7_jPT6_SK_bb,@function
_ZN7rocprim17ROCPRIM_304000_NS6detail20lookback_scan_kernelILNS1_25lookback_scan_determinismE0ELb0ENS1_19wrapped_scan_configINS0_14default_configElEEPKlPlSt10multipliesIlEllNS1_19lookback_scan_stateIlLb0ELb1EEEEEvT2_T3_mT5_T4_T7_jPT6_SK_bb: ; @_ZN7rocprim17ROCPRIM_304000_NS6detail20lookback_scan_kernelILNS1_25lookback_scan_determinismE0ELb0ENS1_19wrapped_scan_configINS0_14default_configElEEPKlPlSt10multipliesIlEllNS1_19lookback_scan_stateIlLb0ELb1EEEEEvT2_T3_mT5_T4_T7_jPT6_SK_bb
; %bb.0:
	s_load_dword s3, s[0:1], 0x30
	s_load_dwordx4 s[8:11], s[0:1], 0x0
	s_load_dwordx2 s[4:5], s[0:1], 0x10
	s_mul_i32 s6, s2, 0xf00
	s_mov_b32 s7, 0
	s_waitcnt lgkmcnt(0)
	s_add_i32 s3, s3, -1
	s_mul_i32 s12, s3, 0xf00
	s_sub_u32 s22, s4, s12
	s_subb_u32 s23, s5, 0
	s_cmp_lg_u32 s2, s3
	s_cselect_b64 s[12:13], -1, 0
	s_lshl_b64 s[14:15], s[6:7], 3
	s_add_u32 s6, s8, s14
	s_addc_u32 s7, s9, s15
	s_mov_b64 s[4:5], -1
	s_and_b64 vcc, exec, s[12:13]
	v_lshlrev_b32_e32 v62, 3, v0
	s_cbranch_vccz .LBB30_2
; %bb.1:
	v_mov_b32_e32 v63, 0
	v_lshl_add_u64 v[2:3], s[6:7], 0, v[62:63]
	v_add_co_u32_e32 v8, vcc, 0x1000, v2
	global_load_dwordx2 v[4:5], v62, s[6:7]
	global_load_dwordx2 v[6:7], v62, s[6:7] offset:2048
	v_addc_co_u32_e32 v9, vcc, 0, v3, vcc
	v_add_co_u32_e32 v10, vcc, 0x2000, v2
	s_mov_b64 s[4:5], 0
	s_nop 0
	v_addc_co_u32_e32 v11, vcc, 0, v3, vcc
	global_load_dwordx2 v[12:13], v[8:9], off
	global_load_dwordx2 v[14:15], v[8:9], off offset:2048
	global_load_dwordx2 v[16:17], v[10:11], off
	global_load_dwordx2 v[18:19], v[10:11], off offset:2048
	v_add_co_u32_e32 v8, vcc, 0x3000, v2
	s_nop 1
	v_addc_co_u32_e32 v9, vcc, 0, v3, vcc
	v_add_co_u32_e32 v10, vcc, 0x4000, v2
	s_nop 1
	v_addc_co_u32_e32 v11, vcc, 0, v3, vcc
	global_load_dwordx2 v[20:21], v[8:9], off
	global_load_dwordx2 v[22:23], v[8:9], off offset:2048
	global_load_dwordx2 v[24:25], v[10:11], off
	global_load_dwordx2 v[26:27], v[10:11], off offset:2048
	v_add_co_u32_e32 v8, vcc, 0x5000, v2
	s_nop 1
	v_addc_co_u32_e32 v9, vcc, 0, v3, vcc
	v_add_co_u32_e32 v10, vcc, 0x6000, v2
	s_nop 1
	v_addc_co_u32_e32 v11, vcc, 0, v3, vcc
	global_load_dwordx2 v[28:29], v[8:9], off
	global_load_dwordx2 v[30:31], v[8:9], off offset:2048
	global_load_dwordx2 v[32:33], v[10:11], off
	global_load_dwordx2 v[34:35], v[10:11], off offset:2048
	v_add_co_u32_e32 v2, vcc, 0x7000, v2
	s_nop 1
	v_addc_co_u32_e32 v3, vcc, 0, v3, vcc
	global_load_dwordx2 v[2:3], v[2:3], off
	s_waitcnt vmcnt(13)
	ds_write2st64_b64 v62, v[4:5], v[6:7] offset1:4
	s_waitcnt vmcnt(11)
	ds_write2st64_b64 v62, v[12:13], v[14:15] offset0:8 offset1:12
	s_waitcnt vmcnt(9)
	ds_write2st64_b64 v62, v[16:17], v[18:19] offset0:16 offset1:20
	;; [unrolled: 2-line block ×6, first 2 shown]
	s_waitcnt vmcnt(0)
	ds_write_b64 v62, v[2:3] offset:28672
	s_waitcnt lgkmcnt(0)
	s_barrier
.LBB30_2:
	s_andn2_b64 vcc, exec, s[4:5]
	v_cmp_gt_u32_e64 s[4:5], s22, v0
	s_cbranch_vccnz .LBB30_34
; %bb.3:
	s_load_dwordx2 s[36:37], s[6:7], 0x0
	v_mov_b32_e32 v63, 0
	v_lshl_add_u64 v[34:35], s[6:7], 0, v[62:63]
	s_waitcnt lgkmcnt(0)
	s_mov_b32 s38, s36
	s_mov_b32 s39, s37
	;; [unrolled: 1-line block ×28, first 2 shown]
	v_mov_b64_e32 v[2:3], s[36:37]
	v_mov_b64_e32 v[4:5], s[38:39]
	;; [unrolled: 1-line block ×16, first 2 shown]
	s_and_saveexec_b64 s[6:7], s[4:5]
	s_cbranch_execz .LBB30_5
; %bb.4:
	global_load_dwordx2 v[2:3], v[34:35], off
	v_mov_b32_e32 v4, s36
	v_mov_b32_e32 v5, s37
	;; [unrolled: 1-line block ×28, first 2 shown]
.LBB30_5:
	s_or_b64 exec, exec, s[6:7]
	v_or_b32_e32 v1, 0x100, v0
	v_cmp_gt_u32_e32 vcc, s22, v1
	s_and_saveexec_b64 s[4:5], vcc
	s_cbranch_execz .LBB30_7
; %bb.6:
	global_load_dwordx2 v[4:5], v[34:35], off offset:2048
.LBB30_7:
	s_or_b64 exec, exec, s[4:5]
	v_or_b32_e32 v1, 0x200, v0
	v_cmp_gt_u32_e32 vcc, s22, v1
	s_and_saveexec_b64 s[4:5], vcc
	s_cbranch_execz .LBB30_9
; %bb.8:
	v_add_co_u32_e32 v6, vcc, 0x1000, v34
	s_nop 1
	v_addc_co_u32_e32 v7, vcc, 0, v35, vcc
	global_load_dwordx2 v[6:7], v[6:7], off
.LBB30_9:
	s_or_b64 exec, exec, s[4:5]
	v_or_b32_e32 v1, 0x300, v0
	v_cmp_gt_u32_e32 vcc, s22, v1
	s_and_saveexec_b64 s[4:5], vcc
	s_cbranch_execz .LBB30_11
; %bb.10:
	v_add_co_u32_e32 v8, vcc, 0x1000, v34
	s_nop 1
	v_addc_co_u32_e32 v9, vcc, 0, v35, vcc
	global_load_dwordx2 v[8:9], v[8:9], off offset:2048
.LBB30_11:
	s_or_b64 exec, exec, s[4:5]
	v_or_b32_e32 v1, 0x400, v0
	v_cmp_gt_u32_e32 vcc, s22, v1
	s_and_saveexec_b64 s[4:5], vcc
	s_cbranch_execz .LBB30_13
; %bb.12:
	v_add_co_u32_e32 v10, vcc, 0x2000, v34
	s_nop 1
	v_addc_co_u32_e32 v11, vcc, 0, v35, vcc
	global_load_dwordx2 v[10:11], v[10:11], off
.LBB30_13:
	s_or_b64 exec, exec, s[4:5]
	v_or_b32_e32 v1, 0x500, v0
	v_cmp_gt_u32_e32 vcc, s22, v1
	s_and_saveexec_b64 s[4:5], vcc
	s_cbranch_execz .LBB30_15
; %bb.14:
	v_add_co_u32_e32 v12, vcc, 0x2000, v34
	s_nop 1
	v_addc_co_u32_e32 v13, vcc, 0, v35, vcc
	global_load_dwordx2 v[12:13], v[12:13], off offset:2048
.LBB30_15:
	;; [unrolled: 22-line block ×6, first 2 shown]
	s_or_b64 exec, exec, s[4:5]
	v_or_b32_e32 v1, 0xe00, v0
	v_cmp_gt_u32_e32 vcc, s22, v1
	s_and_saveexec_b64 s[4:5], vcc
	s_cbranch_execz .LBB30_33
; %bb.32:
	v_add_co_u32_e32 v30, vcc, 0x7000, v34
	s_nop 1
	v_addc_co_u32_e32 v31, vcc, 0, v35, vcc
	global_load_dwordx2 v[30:31], v[30:31], off
.LBB30_33:
	s_or_b64 exec, exec, s[4:5]
	s_waitcnt vmcnt(0)
	ds_write2st64_b64 v62, v[2:3], v[4:5] offset1:4
	ds_write2st64_b64 v62, v[6:7], v[8:9] offset0:8 offset1:12
	ds_write2st64_b64 v62, v[10:11], v[12:13] offset0:16 offset1:20
	;; [unrolled: 1-line block ×6, first 2 shown]
	ds_write_b64 v62, v[30:31] offset:28672
	s_waitcnt lgkmcnt(0)
	s_barrier
.LBB30_34:
	v_mul_u32_u24_e32 v66, 15, v0
	v_lshlrev_b32_e32 v1, 3, v66
	ds_read2_b64 v[58:61], v1 offset1:1
	ds_read2_b64 v[54:57], v1 offset0:2 offset1:3
	ds_read2_b64 v[50:53], v1 offset0:4 offset1:5
	;; [unrolled: 1-line block ×6, first 2 shown]
	ds_read_b64 v[64:65], v1 offset:112
	s_load_dwordx2 s[8:9], s[0:1], 0x28
	s_cmp_lg_u32 s2, 0
	v_lshrrev_b32_e32 v1, 5, v0
	v_cmp_gt_u32_e32 vcc, 64, v0
	s_waitcnt lgkmcnt(0)
	s_barrier
	s_cbranch_scc0 .LBB30_95
; %bb.35:
	v_mul_lo_u32 v4, v61, v58
	v_mul_lo_u32 v5, v60, v59
	v_mad_u64_u32 v[2:3], s[4:5], v60, v58, 0
	v_add3_u32 v3, v3, v5, v4
	v_mul_lo_u32 v4, v3, v54
	v_mul_lo_u32 v5, v2, v55
	v_mad_u64_u32 v[2:3], s[4:5], v2, v54, 0
	v_add3_u32 v3, v3, v5, v4
	;; [unrolled: 4-line block ×14, first 2 shown]
	v_add_lshl_u32 v2, v1, v0, 3
	ds_write_b64 v2, v[10:11]
	s_waitcnt lgkmcnt(0)
	s_barrier
	s_and_saveexec_b64 s[6:7], vcc
	s_cbranch_execz .LBB30_49
; %bb.36:
	v_lshlrev_b32_e32 v2, 2, v0
	v_lshrrev_b32_e32 v3, 3, v0
	v_add_lshl_u32 v14, v3, v2, 3
	ds_read2_b64 v[6:9], v14 offset1:1
	ds_read2_b64 v[2:5], v14 offset0:2 offset1:3
	s_waitcnt lgkmcnt(1)
	v_mul_lo_u32 v15, v9, v6
	v_mul_lo_u32 v16, v8, v7
	v_mad_u64_u32 v[12:13], s[4:5], v8, v6, 0
	v_add3_u32 v13, v13, v16, v15
	s_waitcnt lgkmcnt(0)
	v_mul_lo_u32 v15, v13, v2
	v_mul_lo_u32 v16, v12, v3
	v_mad_u64_u32 v[12:13], s[4:5], v12, v2, 0
	v_add3_u32 v13, v13, v16, v15
	v_mul_lo_u32 v15, v13, v4
	v_mul_lo_u32 v16, v12, v5
	v_mad_u64_u32 v[12:13], s[4:5], v12, v4, 0
	v_add3_u32 v13, v13, v16, v15
	v_mbcnt_lo_u32_b32 v15, -1, 0
	v_mbcnt_hi_u32_b32 v15, -1, v15
	v_and_b32_e32 v16, 15, v15
	v_mov_b32_dpp v17, v12 row_shr:1 row_mask:0xf bank_mask:0xf
	v_mov_b32_dpp v18, v13 row_shr:1 row_mask:0xf bank_mask:0xf
	v_cmp_ne_u32_e64 s[4:5], 0, v16
	s_and_saveexec_b64 s[16:17], s[4:5]
; %bb.37:
	v_mul_lo_u32 v18, v18, v12
	v_mul_lo_u32 v19, v17, v13
	v_mad_u64_u32 v[12:13], s[4:5], v17, v12, 0
	v_add3_u32 v13, v13, v19, v18
; %bb.38:
	s_or_b64 exec, exec, s[16:17]
	v_mov_b32_dpp v17, v12 row_shr:2 row_mask:0xf bank_mask:0xf
	v_mov_b32_dpp v18, v13 row_shr:2 row_mask:0xf bank_mask:0xf
	v_cmp_lt_u32_e64 s[4:5], 1, v16
	s_and_saveexec_b64 s[16:17], s[4:5]
; %bb.39:
	v_mul_lo_u32 v18, v18, v12
	v_mul_lo_u32 v19, v17, v13
	v_mad_u64_u32 v[12:13], s[4:5], v17, v12, 0
	v_add3_u32 v13, v13, v19, v18
; %bb.40:
	s_or_b64 exec, exec, s[16:17]
	v_mov_b32_dpp v17, v12 row_shr:4 row_mask:0xf bank_mask:0xf
	v_mov_b32_dpp v18, v13 row_shr:4 row_mask:0xf bank_mask:0xf
	v_cmp_lt_u32_e64 s[4:5], 3, v16
	;; [unrolled: 11-line block ×3, first 2 shown]
	s_and_saveexec_b64 s[16:17], s[4:5]
; %bb.43:
	v_mul_lo_u32 v16, v18, v12
	v_mul_lo_u32 v18, v17, v13
	v_mad_u64_u32 v[12:13], s[4:5], v17, v12, 0
	v_add3_u32 v13, v13, v18, v16
; %bb.44:
	s_or_b64 exec, exec, s[16:17]
	v_and_b32_e32 v18, 16, v15
	v_mov_b32_dpp v16, v12 row_bcast:15 row_mask:0xf bank_mask:0xf
	v_mov_b32_dpp v17, v13 row_bcast:15 row_mask:0xf bank_mask:0xf
	v_cmp_ne_u32_e64 s[4:5], 0, v18
	s_and_saveexec_b64 s[16:17], s[4:5]
; %bb.45:
	v_mul_lo_u32 v17, v17, v12
	v_mul_lo_u32 v18, v16, v13
	v_mad_u64_u32 v[12:13], s[4:5], v16, v12, 0
	v_add3_u32 v13, v13, v18, v17
; %bb.46:
	s_or_b64 exec, exec, s[16:17]
	v_mov_b32_dpp v16, v12 row_bcast:31 row_mask:0xf bank_mask:0xf
	v_mov_b32_dpp v17, v13 row_bcast:31 row_mask:0xf bank_mask:0xf
	v_cmp_lt_u32_e64 s[4:5], 31, v15
	s_and_saveexec_b64 s[16:17], s[4:5]
; %bb.47:
	v_mul_lo_u32 v17, v17, v12
	v_mul_lo_u32 v18, v16, v13
	v_mad_u64_u32 v[12:13], s[4:5], v16, v12, 0
	v_add3_u32 v13, v13, v18, v17
; %bb.48:
	s_or_b64 exec, exec, s[16:17]
	v_add_u32_e32 v16, -1, v15
	v_and_b32_e32 v17, 64, v15
	v_cmp_lt_i32_e64 s[4:5], v16, v17
	s_nop 1
	v_cndmask_b32_e64 v15, v16, v15, s[4:5]
	v_lshlrev_b32_e32 v15, 2, v15
	ds_bpermute_b32 v13, v15, v13
	ds_bpermute_b32 v12, v15, v12
	s_waitcnt lgkmcnt(1)
	v_mul_lo_u32 v13, v13, v6
	s_waitcnt lgkmcnt(0)
	v_mul_lo_u32 v15, v12, v7
	v_mad_u64_u32 v[6:7], s[4:5], v12, v6, 0
	v_add3_u32 v7, v7, v15, v13
	v_cmp_eq_u32_e64 s[4:5], 0, v0
	s_nop 1
	v_cndmask_b32_e64 v7, v7, v11, s[4:5]
	v_cndmask_b32_e64 v6, v6, v10, s[4:5]
	v_mul_lo_u32 v10, v7, v8
	v_mul_lo_u32 v11, v6, v9
	v_mad_u64_u32 v[8:9], s[4:5], v6, v8, 0
	v_add3_u32 v9, v9, v11, v10
	ds_write2_b64 v14, v[6:7], v[8:9] offset1:1
	v_mul_lo_u32 v6, v9, v2
	v_mul_lo_u32 v7, v8, v3
	v_mad_u64_u32 v[2:3], s[4:5], v8, v2, 0
	v_add3_u32 v3, v3, v7, v6
	v_mul_lo_u32 v6, v3, v4
	v_mul_lo_u32 v7, v2, v5
	v_mad_u64_u32 v[4:5], s[4:5], v2, v4, 0
	v_add3_u32 v5, v5, v7, v6
	ds_write2_b64 v14, v[2:3], v[4:5] offset0:2 offset1:3
.LBB30_49:
	s_or_b64 exec, exec, s[6:7]
	v_cmp_eq_u32_e64 s[6:7], 0, v0
	v_cmp_ne_u32_e64 s[4:5], 0, v0
	v_mov_b64_e32 v[10:11], 1
	s_waitcnt lgkmcnt(0)
	s_barrier
	s_and_saveexec_b64 s[16:17], s[4:5]
	s_cbranch_execz .LBB30_51
; %bb.50:
	v_add_u32_e32 v2, -1, v0
	v_lshrrev_b32_e32 v3, 5, v2
	v_add_lshl_u32 v2, v3, v2, 3
	ds_read_b64 v[10:11], v2
.LBB30_51:
	s_or_b64 exec, exec, s[16:17]
	s_and_saveexec_b64 s[16:17], vcc
	s_cbranch_execz .LBB30_94
; %bb.52:
	v_mov_b32_e32 v5, 0
	ds_read_b64 v[2:3], v5 offset:2096
	v_mbcnt_lo_u32_b32 v4, -1, 0
	v_mbcnt_hi_u32_b32 v13, -1, v4
	s_mov_b32 s21, 0
	v_cmp_eq_u32_e64 s[4:5], 0, v13
	s_and_saveexec_b64 s[18:19], s[4:5]
	s_cbranch_execz .LBB30_54
; %bb.53:
	s_add_i32 s20, s2, 64
	s_lshl_b64 s[20:21], s[20:21], 4
	s_add_u32 s20, s8, s20
	s_addc_u32 s21, s9, s21
	v_mov_b32_e32 v4, 1
	v_mov_b64_e32 v[6:7], s[20:21]
	s_waitcnt lgkmcnt(0)
	;;#ASMSTART
	global_store_dwordx4 v[6:7], v[2:5] off sc1	
s_waitcnt vmcnt(0)
	;;#ASMEND
.LBB30_54:
	s_or_b64 exec, exec, s[18:19]
	v_xad_u32 v12, v13, -1, s2
	v_add_u32_e32 v4, 64, v12
	v_lshl_add_u64 v[14:15], v[4:5], 4, s[8:9]
	;;#ASMSTART
	global_load_dwordx4 v[6:9], v[14:15] off sc1	
s_waitcnt vmcnt(0)
	;;#ASMEND
	s_nop 0
	v_cmp_eq_u16_sdwa s[20:21], v8, v5 src0_sel:BYTE_0 src1_sel:DWORD
	s_and_saveexec_b64 s[18:19], s[20:21]
	s_cbranch_execz .LBB30_58
; %bb.55:
	s_mov_b64 s[20:21], 0
	v_mov_b32_e32 v4, 0
.LBB30_56:                              ; =>This Inner Loop Header: Depth=1
	;;#ASMSTART
	global_load_dwordx4 v[6:9], v[14:15] off sc1	
s_waitcnt vmcnt(0)
	;;#ASMEND
	s_nop 0
	v_cmp_ne_u16_sdwa s[24:25], v8, v4 src0_sel:BYTE_0 src1_sel:DWORD
	s_or_b64 s[20:21], s[24:25], s[20:21]
	s_andn2_b64 exec, exec, s[20:21]
	s_cbranch_execnz .LBB30_56
; %bb.57:
	s_or_b64 exec, exec, s[20:21]
.LBB30_58:
	s_or_b64 exec, exec, s[18:19]
	v_mov_b32_e32 v4, 2
	v_cmp_eq_u16_sdwa s[18:19], v8, v4 src0_sel:BYTE_0 src1_sel:DWORD
	v_lshlrev_b64 v[4:5], v13, -1
	v_add_u32_e32 v19, 1, v13
	v_and_b32_e32 v9, s19, v5
	v_or_b32_e32 v9, 0x80000000, v9
	v_ffbl_b32_e32 v9, v9
	v_add_u32_e32 v17, 32, v9
	v_and_b32_e32 v9, 63, v13
	v_cmp_ne_u32_e32 vcc, 63, v9
	v_and_b32_e32 v14, s18, v4
	v_ffbl_b32_e32 v14, v14
	v_addc_co_u32_e32 v15, vcc, 0, v13, vcc
	v_lshlrev_b32_e32 v18, 2, v15
	ds_bpermute_b32 v15, v18, v6
	ds_bpermute_b32 v16, v18, v7
	v_min_u32_e32 v14, v14, v17
	v_cmp_le_u32_e32 vcc, v19, v14
	s_and_saveexec_b64 s[18:19], vcc
	s_cbranch_execz .LBB30_60
; %bb.59:
	s_waitcnt lgkmcnt(0)
	v_mul_lo_u32 v16, v16, v6
	v_mul_lo_u32 v17, v15, v7
	v_mad_u64_u32 v[6:7], s[20:21], v15, v6, 0
	v_add3_u32 v7, v7, v17, v16
.LBB30_60:
	s_or_b64 exec, exec, s[18:19]
	v_cmp_gt_u32_e32 vcc, 62, v9
	v_add_u32_e32 v21, 2, v13
	s_waitcnt lgkmcnt(1)
	v_cndmask_b32_e64 v15, 0, 1, vcc
	v_lshlrev_b32_e32 v15, 1, v15
	v_add_lshl_u32 v20, v15, v13, 2
	ds_bpermute_b32 v15, v20, v6
	s_waitcnt lgkmcnt(1)
	ds_bpermute_b32 v16, v20, v7
	v_cmp_le_u32_e32 vcc, v21, v14
	s_and_saveexec_b64 s[18:19], vcc
	s_cbranch_execz .LBB30_62
; %bb.61:
	s_waitcnt lgkmcnt(0)
	v_mul_lo_u32 v16, v16, v6
	v_mul_lo_u32 v17, v15, v7
	v_mad_u64_u32 v[6:7], s[20:21], v15, v6, 0
	v_add3_u32 v7, v7, v17, v16
.LBB30_62:
	s_or_b64 exec, exec, s[18:19]
	v_cmp_gt_u32_e32 vcc, 60, v9
	v_add_u32_e32 v23, 4, v13
	s_waitcnt lgkmcnt(1)
	v_cndmask_b32_e64 v15, 0, 1, vcc
	v_lshlrev_b32_e32 v15, 2, v15
	v_add_lshl_u32 v22, v15, v13, 2
	ds_bpermute_b32 v15, v22, v6
	s_waitcnt lgkmcnt(1)
	ds_bpermute_b32 v16, v22, v7
	;; [unrolled: 20-line block ×4, first 2 shown]
	v_cmp_le_u32_e32 vcc, v27, v14
	s_and_saveexec_b64 s[18:19], vcc
	s_cbranch_execz .LBB30_68
; %bb.67:
	s_waitcnt lgkmcnt(0)
	v_mul_lo_u32 v16, v16, v6
	v_mul_lo_u32 v17, v15, v7
	v_mad_u64_u32 v[6:7], s[20:21], v15, v6, 0
	v_add3_u32 v7, v7, v17, v16
.LBB30_68:
	s_or_b64 exec, exec, s[18:19]
	v_cmp_gt_u32_e32 vcc, 32, v9
	v_add_u32_e32 v29, 32, v13
	s_nop 0
	v_cndmask_b32_e64 v9, 0, 1, vcc
	v_lshlrev_b32_e32 v9, 5, v9
	v_add_lshl_u32 v28, v9, v13, 2
	ds_bpermute_b32 v9, v28, v6
	s_waitcnt lgkmcnt(2)
	ds_bpermute_b32 v15, v28, v7
	v_cmp_le_u32_e32 vcc, v29, v14
	s_and_saveexec_b64 s[18:19], vcc
	s_cbranch_execz .LBB30_70
; %bb.69:
	s_waitcnt lgkmcnt(0)
	v_mul_lo_u32 v13, v15, v6
	v_mul_lo_u32 v14, v9, v7
	v_mad_u64_u32 v[6:7], s[20:21], v9, v6, 0
	v_add3_u32 v7, v7, v14, v13
.LBB30_70:
	s_or_b64 exec, exec, s[18:19]
	v_mov_b32_e32 v13, 0
	v_mov_b32_e32 v30, 2
	s_branch .LBB30_72
.LBB30_71:                              ;   in Loop: Header=BB30_72 Depth=1
	s_or_b64 exec, exec, s[18:19]
	v_mul_lo_u32 v9, v7, v14
	s_waitcnt lgkmcnt(1)
	v_mul_lo_u32 v16, v6, v15
	v_mad_u64_u32 v[6:7], s[18:19], v6, v14, 0
	v_subrev_u32_e32 v12, 64, v12
	v_add3_u32 v7, v7, v16, v9
.LBB30_72:                              ; =>This Loop Header: Depth=1
                                        ;     Child Loop BB30_75 Depth 2
	v_cmp_ne_u16_sdwa s[18:19], v8, v30 src0_sel:BYTE_0 src1_sel:DWORD
	s_waitcnt lgkmcnt(0)
	v_mov_b64_e32 v[14:15], v[6:7]
	v_cndmask_b32_e64 v8, 0, 1, s[18:19]
	;;#ASMSTART
	;;#ASMEND
	s_nop 0
	v_cmp_ne_u32_e32 vcc, 0, v8
	s_cmp_lg_u64 vcc, exec
	s_cbranch_scc1 .LBB30_89
; %bb.73:                               ;   in Loop: Header=BB30_72 Depth=1
	v_lshl_add_u64 v[16:17], v[12:13], 4, s[8:9]
	;;#ASMSTART
	global_load_dwordx4 v[6:9], v[16:17] off sc1	
s_waitcnt vmcnt(0)
	;;#ASMEND
	s_nop 0
	v_cmp_eq_u16_sdwa s[20:21], v8, v13 src0_sel:BYTE_0 src1_sel:DWORD
	s_and_saveexec_b64 s[18:19], s[20:21]
	s_cbranch_execz .LBB30_77
; %bb.74:                               ;   in Loop: Header=BB30_72 Depth=1
	s_mov_b64 s[20:21], 0
.LBB30_75:                              ;   Parent Loop BB30_72 Depth=1
                                        ; =>  This Inner Loop Header: Depth=2
	;;#ASMSTART
	global_load_dwordx4 v[6:9], v[16:17] off sc1	
s_waitcnt vmcnt(0)
	;;#ASMEND
	s_nop 0
	v_cmp_ne_u16_sdwa s[24:25], v8, v13 src0_sel:BYTE_0 src1_sel:DWORD
	s_or_b64 s[20:21], s[24:25], s[20:21]
	s_andn2_b64 exec, exec, s[20:21]
	s_cbranch_execnz .LBB30_75
; %bb.76:                               ;   in Loop: Header=BB30_72 Depth=1
	s_or_b64 exec, exec, s[20:21]
.LBB30_77:                              ;   in Loop: Header=BB30_72 Depth=1
	s_or_b64 exec, exec, s[18:19]
	v_cmp_eq_u16_sdwa s[18:19], v8, v30 src0_sel:BYTE_0 src1_sel:DWORD
	ds_bpermute_b32 v16, v18, v6
	ds_bpermute_b32 v17, v18, v7
	v_and_b32_e32 v9, s19, v5
	v_or_b32_e32 v9, 0x80000000, v9
	v_and_b32_e32 v31, s18, v4
	v_ffbl_b32_e32 v9, v9
	v_add_u32_e32 v9, 32, v9
	v_ffbl_b32_e32 v31, v31
	v_min_u32_e32 v9, v31, v9
	v_cmp_le_u32_e32 vcc, v19, v9
	s_and_saveexec_b64 s[18:19], vcc
	s_cbranch_execz .LBB30_79
; %bb.78:                               ;   in Loop: Header=BB30_72 Depth=1
	s_waitcnt lgkmcnt(0)
	v_mul_lo_u32 v17, v17, v6
	v_mul_lo_u32 v31, v16, v7
	v_mad_u64_u32 v[6:7], s[20:21], v16, v6, 0
	v_add3_u32 v7, v7, v31, v17
.LBB30_79:                              ;   in Loop: Header=BB30_72 Depth=1
	s_or_b64 exec, exec, s[18:19]
	s_waitcnt lgkmcnt(1)
	ds_bpermute_b32 v16, v20, v6
	s_waitcnt lgkmcnt(1)
	ds_bpermute_b32 v17, v20, v7
	v_cmp_le_u32_e32 vcc, v21, v9
	s_and_saveexec_b64 s[18:19], vcc
	s_cbranch_execz .LBB30_81
; %bb.80:                               ;   in Loop: Header=BB30_72 Depth=1
	s_waitcnt lgkmcnt(0)
	v_mul_lo_u32 v17, v17, v6
	v_mul_lo_u32 v31, v16, v7
	v_mad_u64_u32 v[6:7], s[20:21], v16, v6, 0
	v_add3_u32 v7, v7, v31, v17
.LBB30_81:                              ;   in Loop: Header=BB30_72 Depth=1
	s_or_b64 exec, exec, s[18:19]
	s_waitcnt lgkmcnt(1)
	ds_bpermute_b32 v16, v22, v6
	s_waitcnt lgkmcnt(1)
	ds_bpermute_b32 v17, v22, v7
	;; [unrolled: 15-line block ×5, first 2 shown]
	v_cmp_le_u32_e32 vcc, v29, v9
	s_and_saveexec_b64 s[18:19], vcc
	s_cbranch_execz .LBB30_71
; %bb.88:                               ;   in Loop: Header=BB30_72 Depth=1
	s_waitcnt lgkmcnt(0)
	v_mul_lo_u32 v9, v17, v6
	v_mul_lo_u32 v17, v16, v7
	v_mad_u64_u32 v[6:7], s[20:21], v16, v6, 0
	v_add3_u32 v7, v7, v17, v9
	s_branch .LBB30_71
.LBB30_89:                              ;   in Loop: Header=BB30_72 Depth=1
                                        ; implicit-def: $vgpr6_vgpr7
	s_cbranch_execz .LBB30_72
; %bb.90:
	s_and_saveexec_b64 s[18:19], s[4:5]
	s_cbranch_execz .LBB30_92
; %bb.91:
	s_add_i32 s2, s2, 64
	s_mov_b32 s3, 0
	s_lshl_b64 s[2:3], s[2:3], 4
	s_add_u32 s2, s8, s2
	v_mul_lo_u32 v4, v15, v2
	v_mul_lo_u32 v5, v14, v3
	v_mad_u64_u32 v[2:3], s[4:5], v14, v2, 0
	s_addc_u32 s3, s9, s3
	v_add3_u32 v3, v3, v5, v4
	v_mov_b32_e32 v4, 2
	v_mov_b32_e32 v5, 0
	v_mov_b64_e32 v[6:7], s[2:3]
	;;#ASMSTART
	global_store_dwordx4 v[6:7], v[2:5] off sc1	
s_waitcnt vmcnt(0)
	;;#ASMEND
.LBB30_92:
	s_or_b64 exec, exec, s[18:19]
	s_and_b64 exec, exec, s[6:7]
	s_cbranch_execz .LBB30_94
; %bb.93:
	v_mov_b32_e32 v2, 0
	ds_write_b64 v2, v[14:15]
.LBB30_94:
	s_or_b64 exec, exec, s[16:17]
	v_mov_b32_e32 v2, 0
	s_waitcnt lgkmcnt(0)
	s_barrier
	ds_read_b64 v[2:3], v2
	v_mul_lo_u32 v6, v11, v58
	v_mul_lo_u32 v7, v10, v59
	v_mad_u64_u32 v[4:5], s[2:3], v10, v58, 0
	v_add3_u32 v5, v5, v7, v6
	s_waitcnt lgkmcnt(0)
	v_mul_lo_u32 v5, v5, v2
	v_mul_lo_u32 v6, v4, v3
	v_mad_u64_u32 v[2:3], s[2:3], v4, v2, 0
	v_add3_u32 v3, v3, v6, v5
	v_mul_lo_u32 v6, v3, v60
	v_mul_lo_u32 v7, v2, v61
	v_mad_u64_u32 v[4:5], s[2:3], v2, v60, 0
	v_add3_u32 v5, v5, v7, v6
	;; [unrolled: 4-line block ×15, first 2 shown]
	s_load_dwordx4 s[4:7], s[0:1], 0x38
	s_branch .LBB30_117
.LBB30_95:
                                        ; implicit-def: $vgpr2_vgpr3_vgpr4_vgpr5_vgpr6_vgpr7_vgpr8_vgpr9_vgpr10_vgpr11_vgpr12_vgpr13_vgpr14_vgpr15_vgpr16_vgpr17_vgpr18_vgpr19_vgpr20_vgpr21_vgpr22_vgpr23_vgpr24_vgpr25_vgpr26_vgpr27_vgpr28_vgpr29_vgpr30_vgpr31_vgpr32_vgpr33
	s_load_dwordx4 s[4:7], s[0:1], 0x38
	s_cbranch_execz .LBB30_117
; %bb.96:
	s_load_dword s16, s[0:1], 0x48
	v_cmp_eq_u32_e32 vcc, 0, v0
	v_cmp_ne_u32_e64 s[2:3], 0, v0
	s_waitcnt lgkmcnt(0)
	s_bitcmp1_b32 s16, 0
	s_cselect_b64 s[16:17], -1, 0
	s_and_b64 s[18:19], vcc, s[16:17]
	s_and_saveexec_b64 s[16:17], s[18:19]
	s_cbranch_execz .LBB30_98
; %bb.97:
	s_load_dwordx2 s[4:5], s[4:5], 0x0
	s_waitcnt lgkmcnt(0)
	v_mul_lo_u32 v2, s5, v58
	v_mul_lo_u32 v3, s4, v59
	v_mad_u64_u32 v[58:59], s[4:5], s4, v58, 0
	v_add3_u32 v59, v59, v3, v2
.LBB30_98:
	s_or_b64 exec, exec, s[16:17]
	v_mul_lo_u32 v4, v61, v58
	v_mul_lo_u32 v5, v60, v59
	v_mad_u64_u32 v[2:3], s[4:5], v60, v58, 0
	v_add3_u32 v3, v3, v5, v4
	v_mul_lo_u32 v4, v3, v54
	v_mul_lo_u32 v5, v2, v55
	v_mad_u64_u32 v[2:3], s[4:5], v2, v54, 0
	v_add3_u32 v3, v3, v5, v4
	;; [unrolled: 4-line block ×14, first 2 shown]
	v_add_lshl_u32 v1, v1, v0, 3
	v_cmp_gt_u32_e64 s[4:5], 64, v0
	ds_write_b64 v1, v[10:11]
	s_waitcnt lgkmcnt(0)
	s_barrier
	s_and_saveexec_b64 s[16:17], s[4:5]
	s_cbranch_execz .LBB30_112
; %bb.99:
	v_lshlrev_b32_e32 v1, 2, v0
	v_lshrrev_b32_e32 v2, 3, v0
	v_add_lshl_u32 v1, v2, v1, 3
	ds_read2_b64 v[6:9], v1 offset1:1
	ds_read2_b64 v[2:5], v1 offset0:2 offset1:3
	s_waitcnt lgkmcnt(1)
	v_mul_lo_u32 v14, v9, v6
	v_mul_lo_u32 v15, v8, v7
	v_mad_u64_u32 v[12:13], s[4:5], v8, v6, 0
	v_add3_u32 v13, v13, v15, v14
	s_waitcnt lgkmcnt(0)
	v_mul_lo_u32 v14, v13, v2
	v_mul_lo_u32 v15, v12, v3
	v_mad_u64_u32 v[12:13], s[4:5], v12, v2, 0
	v_add3_u32 v13, v13, v15, v14
	v_mul_lo_u32 v14, v13, v4
	v_mul_lo_u32 v15, v12, v5
	v_mad_u64_u32 v[12:13], s[4:5], v12, v4, 0
	v_add3_u32 v13, v13, v15, v14
	v_mbcnt_lo_u32_b32 v14, -1, 0
	v_mbcnt_hi_u32_b32 v14, -1, v14
	v_and_b32_e32 v15, 15, v14
	v_mov_b32_dpp v16, v12 row_shr:1 row_mask:0xf bank_mask:0xf
	v_mov_b32_dpp v17, v13 row_shr:1 row_mask:0xf bank_mask:0xf
	v_cmp_ne_u32_e64 s[4:5], 0, v15
	s_and_saveexec_b64 s[18:19], s[4:5]
; %bb.100:
	v_mul_lo_u32 v17, v17, v12
	v_mul_lo_u32 v18, v16, v13
	v_mad_u64_u32 v[12:13], s[4:5], v16, v12, 0
	v_add3_u32 v13, v13, v18, v17
; %bb.101:
	s_or_b64 exec, exec, s[18:19]
	v_mov_b32_dpp v16, v12 row_shr:2 row_mask:0xf bank_mask:0xf
	v_mov_b32_dpp v17, v13 row_shr:2 row_mask:0xf bank_mask:0xf
	v_cmp_lt_u32_e64 s[4:5], 1, v15
	s_and_saveexec_b64 s[18:19], s[4:5]
; %bb.102:
	v_mul_lo_u32 v17, v17, v12
	v_mul_lo_u32 v18, v16, v13
	v_mad_u64_u32 v[12:13], s[4:5], v16, v12, 0
	v_add3_u32 v13, v13, v18, v17
; %bb.103:
	s_or_b64 exec, exec, s[18:19]
	v_mov_b32_dpp v16, v12 row_shr:4 row_mask:0xf bank_mask:0xf
	v_mov_b32_dpp v17, v13 row_shr:4 row_mask:0xf bank_mask:0xf
	v_cmp_lt_u32_e64 s[4:5], 3, v15
	;; [unrolled: 11-line block ×3, first 2 shown]
	s_and_saveexec_b64 s[18:19], s[4:5]
; %bb.106:
	v_mul_lo_u32 v15, v17, v12
	v_mul_lo_u32 v17, v16, v13
	v_mad_u64_u32 v[12:13], s[4:5], v16, v12, 0
	v_add3_u32 v13, v13, v17, v15
; %bb.107:
	s_or_b64 exec, exec, s[18:19]
	v_and_b32_e32 v17, 16, v14
	v_mov_b32_dpp v15, v12 row_bcast:15 row_mask:0xf bank_mask:0xf
	v_mov_b32_dpp v16, v13 row_bcast:15 row_mask:0xf bank_mask:0xf
	v_cmp_ne_u32_e64 s[4:5], 0, v17
	s_and_saveexec_b64 s[18:19], s[4:5]
; %bb.108:
	v_mul_lo_u32 v16, v16, v12
	v_mul_lo_u32 v17, v15, v13
	v_mad_u64_u32 v[12:13], s[4:5], v15, v12, 0
	v_add3_u32 v13, v13, v17, v16
; %bb.109:
	s_or_b64 exec, exec, s[18:19]
	v_mov_b32_dpp v15, v12 row_bcast:31 row_mask:0xf bank_mask:0xf
	v_mov_b32_dpp v16, v13 row_bcast:31 row_mask:0xf bank_mask:0xf
	v_cmp_lt_u32_e64 s[4:5], 31, v14
	s_and_saveexec_b64 s[18:19], s[4:5]
; %bb.110:
	v_mul_lo_u32 v16, v16, v12
	v_mul_lo_u32 v17, v15, v13
	v_mad_u64_u32 v[12:13], s[4:5], v15, v12, 0
	v_add3_u32 v13, v13, v17, v16
; %bb.111:
	s_or_b64 exec, exec, s[18:19]
	v_add_u32_e32 v15, -1, v14
	v_and_b32_e32 v16, 64, v14
	v_cmp_lt_i32_e64 s[4:5], v15, v16
	s_nop 1
	v_cndmask_b32_e64 v14, v15, v14, s[4:5]
	v_lshlrev_b32_e32 v14, 2, v14
	ds_bpermute_b32 v13, v14, v13
	ds_bpermute_b32 v12, v14, v12
	s_waitcnt lgkmcnt(1)
	v_mul_lo_u32 v13, v13, v6
	s_waitcnt lgkmcnt(0)
	v_mul_lo_u32 v14, v12, v7
	v_mad_u64_u32 v[6:7], s[4:5], v12, v6, 0
	v_add3_u32 v7, v7, v14, v13
	v_cndmask_b32_e32 v7, v7, v11, vcc
	v_cndmask_b32_e32 v6, v6, v10, vcc
	v_mul_lo_u32 v10, v7, v8
	v_mul_lo_u32 v11, v6, v9
	v_mad_u64_u32 v[8:9], s[4:5], v6, v8, 0
	v_add3_u32 v9, v9, v11, v10
	ds_write2_b64 v1, v[6:7], v[8:9] offset1:1
	v_mul_lo_u32 v6, v9, v2
	v_mul_lo_u32 v7, v8, v3
	v_mad_u64_u32 v[2:3], s[4:5], v8, v2, 0
	v_add3_u32 v3, v3, v7, v6
	v_mul_lo_u32 v6, v3, v4
	v_mul_lo_u32 v7, v2, v5
	v_mad_u64_u32 v[4:5], s[4:5], v2, v4, 0
	v_add3_u32 v5, v5, v7, v6
	ds_write2_b64 v1, v[2:3], v[4:5] offset0:2 offset1:3
.LBB30_112:
	s_or_b64 exec, exec, s[16:17]
	v_mov_b64_e32 v[2:3], 1
	s_waitcnt lgkmcnt(0)
	s_barrier
	s_and_saveexec_b64 s[4:5], s[2:3]
	s_cbranch_execz .LBB30_114
; %bb.113:
	v_add_u32_e32 v1, -1, v0
	v_lshrrev_b32_e32 v2, 5, v1
	v_add_lshl_u32 v1, v2, v1, 3
	ds_read_b64 v[2:3], v1
.LBB30_114:
	s_or_b64 exec, exec, s[4:5]
	s_waitcnt lgkmcnt(0)
	v_mul_lo_u32 v1, v3, v58
	v_mul_lo_u32 v4, v2, v59
	v_mad_u64_u32 v[2:3], s[2:3], v2, v58, 0
	v_add3_u32 v3, v3, v4, v1
	v_mul_lo_u32 v1, v3, v60
	v_mul_lo_u32 v6, v2, v61
	v_mad_u64_u32 v[4:5], s[2:3], v2, v60, 0
	v_add3_u32 v5, v5, v6, v1
	;; [unrolled: 4-line block ×15, first 2 shown]
	s_and_saveexec_b64 s[2:3], vcc
	s_cbranch_execz .LBB30_116
; %bb.115:
	s_add_u32 s4, s8, 0x400
	v_mov_b32_e32 v35, 0
	s_addc_u32 s5, s9, 0
	ds_read_b64 v[32:33], v35 offset:2096
	v_mov_b32_e32 v34, 2
	v_mov_b64_e32 v[36:37], s[4:5]
	s_waitcnt lgkmcnt(0)
	;;#ASMSTART
	global_store_dwordx4 v[36:37], v[32:35] off sc1	
s_waitcnt vmcnt(0)
	;;#ASMEND
.LBB30_116:
	s_or_b64 exec, exec, s[2:3]
.LBB30_117:
	s_add_u32 s2, s10, s14
	s_addc_u32 s3, s11, s15
	s_waitcnt lgkmcnt(0)
	s_mov_b64 s[4:5], -1
	s_and_b64 vcc, exec, s[12:13]
	s_barrier
	s_cbranch_vccz .LBB30_119
; %bb.118:
	v_mul_u32_u24_e32 v1, 0x78, v0
	s_movk_i32 s4, 0x78
	ds_write2_b64 v1, v[2:3], v[4:5] offset1:1
	ds_write2_b64 v1, v[6:7], v[8:9] offset0:2 offset1:3
	ds_write2_b64 v1, v[10:11], v[12:13] offset0:4 offset1:5
	;; [unrolled: 1-line block ×6, first 2 shown]
	ds_write_b64 v1, v[30:31] offset:112
	v_mul_i32_i24_e32 v1, 0xffffff90, v0
	v_mad_u32_u24 v1, v0, s4, v1
	v_mov_b32_e32 v63, 0
	s_waitcnt lgkmcnt(0)
	s_barrier
	ds_read2st64_b64 v[32:35], v1 offset1:4
	ds_read2st64_b64 v[36:39], v1 offset0:8 offset1:12
	ds_read2st64_b64 v[40:43], v1 offset0:16 offset1:20
	;; [unrolled: 1-line block ×6, first 2 shown]
	ds_read_b64 v[60:61], v1 offset:28672
	v_lshl_add_u64 v[64:65], s[2:3], 0, v[62:63]
	s_movk_i32 s4, 0x1000
	s_waitcnt lgkmcnt(7)
	global_store_dwordx2 v62, v[32:33], s[2:3]
	global_store_dwordx2 v62, v[34:35], s[2:3] offset:2048
	v_add_co_u32_e32 v32, vcc, s4, v64
	s_movk_i32 s4, 0x2000
	s_nop 0
	v_addc_co_u32_e32 v33, vcc, 0, v65, vcc
	v_add_co_u32_e32 v34, vcc, s4, v64
	s_movk_i32 s4, 0x3000
	s_nop 0
	v_addc_co_u32_e32 v35, vcc, 0, v65, vcc
	s_waitcnt lgkmcnt(6)
	global_store_dwordx2 v[34:35], v[36:37], off offset:-4096
	global_store_dwordx2 v[32:33], v[38:39], off offset:2048
	s_waitcnt lgkmcnt(5)
	global_store_dwordx2 v[34:35], v[40:41], off
	global_store_dwordx2 v[34:35], v[42:43], off offset:2048
	v_add_co_u32_e32 v32, vcc, s4, v64
	s_movk_i32 s4, 0x4000
	s_nop 0
	v_addc_co_u32_e32 v33, vcc, 0, v65, vcc
	v_add_co_u32_e32 v34, vcc, s4, v64
	s_movk_i32 s4, 0x5000
	s_nop 0
	v_addc_co_u32_e32 v35, vcc, 0, v65, vcc
	s_waitcnt lgkmcnt(4)
	global_store_dwordx2 v[34:35], v[44:45], off offset:-4096
	global_store_dwordx2 v[32:33], v[46:47], off offset:2048
	s_waitcnt lgkmcnt(3)
	global_store_dwordx2 v[34:35], v[48:49], off
	global_store_dwordx2 v[34:35], v[50:51], off offset:2048
	v_add_co_u32_e32 v32, vcc, s4, v64
	s_mov_b64 s[4:5], 0
	s_nop 0
	v_addc_co_u32_e32 v33, vcc, 0, v65, vcc
	s_waitcnt lgkmcnt(2)
	global_store_dwordx2 v[32:33], v[52:53], off
	global_store_dwordx2 v[32:33], v[54:55], off offset:2048
	v_add_co_u32_e32 v32, vcc, 0x6000, v64
	s_nop 1
	v_addc_co_u32_e32 v33, vcc, 0, v65, vcc
	s_waitcnt lgkmcnt(1)
	global_store_dwordx2 v[32:33], v[56:57], off
	global_store_dwordx2 v[32:33], v[58:59], off offset:2048
	v_add_co_u32_e32 v32, vcc, 0x7000, v64
	s_nop 1
	v_addc_co_u32_e32 v33, vcc, 0, v65, vcc
	s_waitcnt lgkmcnt(0)
	global_store_dwordx2 v[32:33], v[60:61], off
.LBB30_119:
	s_andn2_b64 vcc, exec, s[4:5]
	s_cbranch_vccnz .LBB30_205
; %bb.120:
	v_mul_u32_u24_e32 v1, 0x78, v0
	s_movk_i32 s4, 0x78
	ds_write2_b64 v1, v[2:3], v[4:5] offset1:1
	ds_write2_b64 v1, v[6:7], v[8:9] offset0:2 offset1:3
	ds_write2_b64 v1, v[10:11], v[12:13] offset0:4 offset1:5
	;; [unrolled: 1-line block ×6, first 2 shown]
	ds_write_b64 v1, v[30:31] offset:112
	v_mul_i32_i24_e32 v1, 0xffffff90, v0
	v_mad_u32_u24 v1, v0, s4, v1
	s_waitcnt lgkmcnt(0)
	s_barrier
	ds_read2st64_b64 v[6:9], v1 offset1:4
	ds_read2st64_b64 v[14:17], v1 offset0:8 offset1:12
	ds_read2st64_b64 v[10:13], v1 offset0:16 offset1:20
	;; [unrolled: 1-line block ×6, first 2 shown]
	ds_read_b64 v[30:31], v1 offset:28672
	v_mov_b32_e32 v63, 0
	v_lshl_add_u64 v[32:33], s[2:3], 0, v[62:63]
	v_cmp_gt_u32_e32 vcc, s22, v0
	s_and_saveexec_b64 s[2:3], vcc
	s_cbranch_execz .LBB30_122
; %bb.121:
	s_waitcnt lgkmcnt(7)
	global_store_dwordx2 v[32:33], v[6:7], off
.LBB30_122:
	s_or_b64 exec, exec, s[2:3]
	v_or_b32_e32 v1, 0x100, v0
	v_cmp_gt_u32_e32 vcc, s22, v1
	s_and_saveexec_b64 s[2:3], vcc
	s_cbranch_execz .LBB30_124
; %bb.123:
	s_waitcnt lgkmcnt(7)
	global_store_dwordx2 v[32:33], v[8:9], off offset:2048
.LBB30_124:
	s_or_b64 exec, exec, s[2:3]
	v_or_b32_e32 v1, 0x200, v0
	v_cmp_gt_u32_e32 vcc, s22, v1
	s_and_saveexec_b64 s[2:3], vcc
	s_cbranch_execz .LBB30_126
; %bb.125:
	v_add_co_u32_e32 v34, vcc, 0x1000, v32
	s_nop 1
	v_addc_co_u32_e32 v35, vcc, 0, v33, vcc
	s_waitcnt lgkmcnt(6)
	global_store_dwordx2 v[34:35], v[14:15], off
.LBB30_126:
	s_or_b64 exec, exec, s[2:3]
	v_or_b32_e32 v1, 0x300, v0
	v_cmp_gt_u32_e32 vcc, s22, v1
	s_and_saveexec_b64 s[2:3], vcc
	s_cbranch_execz .LBB30_128
; %bb.127:
	v_add_co_u32_e32 v34, vcc, 0x1000, v32
	s_nop 1
	v_addc_co_u32_e32 v35, vcc, 0, v33, vcc
	s_waitcnt lgkmcnt(6)
	global_store_dwordx2 v[34:35], v[16:17], off offset:2048
.LBB30_128:
	s_or_b64 exec, exec, s[2:3]
	v_or_b32_e32 v1, 0x400, v0
	v_cmp_gt_u32_e32 vcc, s22, v1
	s_and_saveexec_b64 s[2:3], vcc
	s_cbranch_execz .LBB30_130
; %bb.129:
	v_add_co_u32_e32 v34, vcc, 0x2000, v32
	s_nop 1
	v_addc_co_u32_e32 v35, vcc, 0, v33, vcc
	s_waitcnt lgkmcnt(5)
	global_store_dwordx2 v[34:35], v[10:11], off
.LBB30_130:
	s_or_b64 exec, exec, s[2:3]
	v_or_b32_e32 v1, 0x500, v0
	v_cmp_gt_u32_e32 vcc, s22, v1
	s_and_saveexec_b64 s[2:3], vcc
	s_cbranch_execz .LBB30_132
; %bb.131:
	v_add_co_u32_e32 v34, vcc, 0x2000, v32
	s_nop 1
	v_addc_co_u32_e32 v35, vcc, 0, v33, vcc
	s_waitcnt lgkmcnt(5)
	global_store_dwordx2 v[34:35], v[12:13], off offset:2048
.LBB30_132:
	;; [unrolled: 24-line block ×6, first 2 shown]
	s_or_b64 exec, exec, s[2:3]
	v_or_b32_e32 v1, 0xe00, v0
	v_cmp_gt_u32_e32 vcc, s22, v1
	s_and_saveexec_b64 s[2:3], vcc
	s_cbranch_execz .LBB30_150
; %bb.149:
	v_add_co_u32_e32 v32, vcc, 0x7000, v32
	s_nop 1
	v_addc_co_u32_e32 v33, vcc, 0, v33, vcc
	s_waitcnt lgkmcnt(0)
	global_store_dwordx2 v[32:33], v[30:31], off
.LBB30_150:
	s_or_b64 exec, exec, s[2:3]
	s_load_dword s0, s[0:1], 0x48
	s_waitcnt lgkmcnt(0)
	s_bfe_u32 s0, s0, 0x10008
	s_cmp_eq_u32 s0, 0
	s_cbranch_scc1 .LBB30_205
; %bb.151:
	s_add_u32 s0, s22, -1
	s_addc_u32 s1, s23, -1
	s_add_u32 s2, 0, 0x11108400
	s_addc_u32 s3, 0, 49
	s_add_i32 s3, s3, 0x111110e0
	s_mul_hi_u32 s9, s2, -15
	s_sub_i32 s9, s9, s2
	s_mul_i32 s10, s3, -15
	s_mul_i32 s4, s2, -15
	s_add_i32 s9, s9, s10
	s_mul_hi_u32 s5, s3, s4
	s_mul_i32 s8, s3, s4
	s_mul_i32 s11, s2, s9
	s_mul_hi_u32 s4, s2, s4
	s_mul_hi_u32 s10, s2, s9
	s_add_u32 s4, s4, s11
	s_addc_u32 s10, 0, s10
	s_add_u32 s4, s4, s8
	s_mul_hi_u32 s11, s3, s9
	s_addc_u32 s4, s10, s5
	s_addc_u32 s5, s11, 0
	s_mul_i32 s8, s3, s9
	s_add_u32 s4, s4, s8
	v_mov_b32_e32 v32, s4
	s_addc_u32 s5, 0, s5
	v_add_co_u32_e32 v32, vcc, s2, v32
	s_cmp_lg_u64 vcc, 0
	s_addc_u32 s2, s3, s5
	v_readfirstlane_b32 s5, v32
	s_mul_i32 s4, s0, s2
	s_mul_hi_u32 s8, s0, s5
	s_mul_hi_u32 s3, s0, s2
	s_add_u32 s4, s8, s4
	s_addc_u32 s3, 0, s3
	s_mul_hi_u32 s9, s1, s5
	s_mul_i32 s5, s1, s5
	s_add_u32 s4, s4, s5
	s_mul_hi_u32 s8, s1, s2
	s_addc_u32 s3, s3, s9
	s_addc_u32 s4, s8, 0
	s_mul_i32 s2, s1, s2
	s_add_u32 s2, s3, s2
	s_addc_u32 s3, 0, s4
	s_add_u32 s4, s2, 1
	s_addc_u32 s5, s3, 0
	s_add_u32 s8, s2, 2
	s_mul_i32 s10, s3, 15
	s_mul_hi_u32 s11, s2, 15
	s_addc_u32 s9, s3, 0
	s_add_i32 s11, s11, s10
	s_mul_i32 s10, s2, 15
	v_mov_b32_e32 v32, s10
	v_sub_co_u32_e32 v32, vcc, s0, v32
	s_cmp_lg_u64 vcc, 0
	s_subb_u32 s10, s1, s11
	v_subrev_co_u32_e32 v33, vcc, 15, v32
	s_cmp_lg_u64 vcc, 0
	s_subb_u32 s11, s10, 0
	v_readfirstlane_b32 s12, v33
	s_cmp_gt_u32 s12, 14
	s_cselect_b32 s12, -1, 0
	s_cmp_eq_u32 s11, 0
	s_cselect_b32 s11, s12, -1
	s_cmp_lg_u32 s11, 0
	s_cselect_b32 s4, s8, s4
	v_readfirstlane_b32 s8, v32
	s_cselect_b32 s5, s9, s5
	s_cmp_gt_u32 s8, 14
	s_cselect_b32 s8, -1, 0
	s_cmp_eq_u32 s10, 0
	s_cselect_b32 s8, s8, -1
	s_cmp_lg_u32 s8, 0
	v_mov_b32_e32 v1, v63
	s_cselect_b32 s3, s5, s3
	s_cselect_b32 s2, s4, s2
	v_cmp_eq_u64_e32 vcc, s[2:3], v[0:1]
	s_and_saveexec_b64 s[2:3], vcc
	s_cbranch_execz .LBB30_205
; %bb.152:
	v_mul_hi_u32_u24_e32 v1, 15, v0
	v_mov_b32_e32 v32, s1
	v_sub_co_u32_e32 v0, vcc, s0, v66
	s_nop 1
	v_subb_co_u32_e32 v1, vcc, v32, v1, vcc
	v_cmp_lt_i64_e32 vcc, 7, v[0:1]
	s_and_saveexec_b64 s[0:1], vcc
	s_xor_b64 s[0:1], exec, s[0:1]
	s_cbranch_execz .LBB30_178
; %bb.153:
	v_cmp_lt_i64_e32 vcc, 10, v[0:1]
	s_and_saveexec_b64 s[2:3], vcc
	s_xor_b64 s[2:3], exec, s[2:3]
	s_cbranch_execz .LBB30_167
; %bb.154:
	;; [unrolled: 5-line block ×4, first 2 shown]
	v_mov_b32_e32 v0, 0
	global_store_dwordx2 v0, v[30:31], s[6:7]
                                        ; implicit-def: $vgpr22_vgpr23_vgpr24_vgpr25
.LBB30_157:
	s_andn2_saveexec_b64 s[8:9], s[8:9]
	s_cbranch_execz .LBB30_159
; %bb.158:
	v_mov_b32_e32 v0, 0
	global_store_dwordx2 v0, v[24:25], s[6:7]
.LBB30_159:
	s_or_b64 exec, exec, s[8:9]
                                        ; implicit-def: $vgpr2_vgpr3_vgpr4_vgpr5
                                        ; implicit-def: $vgpr0_vgpr1
                                        ; implicit-def: $vgpr22_vgpr23_vgpr24_vgpr25
.LBB30_160:
	s_andn2_saveexec_b64 s[4:5], s[4:5]
	s_cbranch_execz .LBB30_166
; %bb.161:
	v_cmp_lt_i64_e32 vcc, 11, v[0:1]
	s_and_saveexec_b64 s[8:9], vcc
	s_xor_b64 s[8:9], exec, s[8:9]
	s_cbranch_execz .LBB30_163
; %bb.162:
	v_mov_b32_e32 v0, 0
	global_store_dwordx2 v0, v[22:23], s[6:7]
                                        ; implicit-def: $vgpr2_vgpr3_vgpr4_vgpr5
.LBB30_163:
	s_andn2_saveexec_b64 s[8:9], s[8:9]
	s_cbranch_execz .LBB30_165
; %bb.164:
	v_mov_b32_e32 v0, 0
	global_store_dwordx2 v0, v[4:5], s[6:7]
.LBB30_165:
	s_or_b64 exec, exec, s[8:9]
.LBB30_166:
	s_or_b64 exec, exec, s[4:5]
                                        ; implicit-def: $vgpr18_vgpr19_vgpr20_vgpr21
                                        ; implicit-def: $vgpr0_vgpr1
                                        ; implicit-def: $vgpr2_vgpr3_vgpr4_vgpr5
.LBB30_167:
	s_andn2_saveexec_b64 s[2:3], s[2:3]
	s_cbranch_execz .LBB30_177
; %bb.168:
	v_cmp_lt_i64_e32 vcc, 8, v[0:1]
	s_and_saveexec_b64 s[4:5], vcc
	s_xor_b64 s[4:5], exec, s[4:5]
	s_cbranch_execz .LBB30_174
; %bb.169:
	v_cmp_lt_i64_e32 vcc, 9, v[0:1]
	s_and_saveexec_b64 s[8:9], vcc
	s_xor_b64 s[8:9], exec, s[8:9]
	s_cbranch_execz .LBB30_171
; %bb.170:
	v_mov_b32_e32 v0, 0
	global_store_dwordx2 v0, v[2:3], s[6:7]
                                        ; implicit-def: $vgpr18_vgpr19_vgpr20_vgpr21
.LBB30_171:
	s_andn2_saveexec_b64 s[8:9], s[8:9]
	s_cbranch_execz .LBB30_173
; %bb.172:
	v_mov_b32_e32 v0, 0
	global_store_dwordx2 v0, v[20:21], s[6:7]
.LBB30_173:
	s_or_b64 exec, exec, s[8:9]
                                        ; implicit-def: $vgpr18_vgpr19_vgpr20_vgpr21
.LBB30_174:
	s_andn2_saveexec_b64 s[4:5], s[4:5]
	s_cbranch_execz .LBB30_176
; %bb.175:
	v_mov_b32_e32 v0, 0
	global_store_dwordx2 v0, v[18:19], s[6:7]
.LBB30_176:
	s_or_b64 exec, exec, s[4:5]
.LBB30_177:
	s_or_b64 exec, exec, s[2:3]
                                        ; implicit-def: $vgpr0_vgpr1
                                        ; implicit-def: $vgpr6_vgpr7_vgpr8_vgpr9
                                        ; implicit-def: $vgpr10_vgpr11_vgpr12_vgpr13
                                        ; implicit-def: $vgpr14_vgpr15_vgpr16_vgpr17
                                        ; implicit-def: $vgpr26_vgpr27_vgpr28_vgpr29
.LBB30_178:
	s_andn2_saveexec_b64 s[0:1], s[0:1]
	s_cbranch_execz .LBB30_205
; %bb.179:
	v_cmp_lt_i64_e32 vcc, 3, v[0:1]
	s_and_saveexec_b64 s[0:1], vcc
	s_xor_b64 s[0:1], exec, s[0:1]
	s_cbranch_execz .LBB30_193
; %bb.180:
	v_cmp_lt_i64_e32 vcc, 5, v[0:1]
	s_and_saveexec_b64 s[2:3], vcc
	s_xor_b64 s[2:3], exec, s[2:3]
	;; [unrolled: 5-line block ×3, first 2 shown]
	s_cbranch_execz .LBB30_183
; %bb.182:
	v_mov_b32_e32 v0, 0
	global_store_dwordx2 v0, v[28:29], s[6:7]
                                        ; implicit-def: $vgpr26_vgpr27_vgpr28_vgpr29
.LBB30_183:
	s_andn2_saveexec_b64 s[4:5], s[4:5]
	s_cbranch_execz .LBB30_185
; %bb.184:
	v_mov_b32_e32 v0, 0
	global_store_dwordx2 v0, v[26:27], s[6:7]
.LBB30_185:
	s_or_b64 exec, exec, s[4:5]
                                        ; implicit-def: $vgpr10_vgpr11_vgpr12_vgpr13
                                        ; implicit-def: $vgpr0_vgpr1
.LBB30_186:
	s_andn2_saveexec_b64 s[2:3], s[2:3]
	s_cbranch_execz .LBB30_192
; %bb.187:
	v_cmp_lt_i64_e32 vcc, 4, v[0:1]
	s_and_saveexec_b64 s[4:5], vcc
	s_xor_b64 s[4:5], exec, s[4:5]
	s_cbranch_execz .LBB30_189
; %bb.188:
	v_mov_b32_e32 v0, 0
	global_store_dwordx2 v0, v[12:13], s[6:7]
                                        ; implicit-def: $vgpr10_vgpr11_vgpr12_vgpr13
.LBB30_189:
	s_andn2_saveexec_b64 s[4:5], s[4:5]
	s_cbranch_execz .LBB30_191
; %bb.190:
	v_mov_b32_e32 v0, 0
	global_store_dwordx2 v0, v[10:11], s[6:7]
.LBB30_191:
	s_or_b64 exec, exec, s[4:5]
.LBB30_192:
	s_or_b64 exec, exec, s[2:3]
                                        ; implicit-def: $vgpr0_vgpr1
                                        ; implicit-def: $vgpr6_vgpr7_vgpr8_vgpr9
                                        ; implicit-def: $vgpr14_vgpr15_vgpr16_vgpr17
.LBB30_193:
	s_andn2_saveexec_b64 s[0:1], s[0:1]
	s_cbranch_execz .LBB30_205
; %bb.194:
	v_cmp_lt_i64_e32 vcc, 1, v[0:1]
	s_and_saveexec_b64 s[0:1], vcc
	s_xor_b64 s[0:1], exec, s[0:1]
	s_cbranch_execz .LBB30_200
; %bb.195:
	v_cmp_lt_i64_e32 vcc, 2, v[0:1]
	s_and_saveexec_b64 s[2:3], vcc
	s_xor_b64 s[2:3], exec, s[2:3]
	s_cbranch_execz .LBB30_197
; %bb.196:
	v_mov_b32_e32 v0, 0
	global_store_dwordx2 v0, v[16:17], s[6:7]
                                        ; implicit-def: $vgpr14_vgpr15_vgpr16_vgpr17
.LBB30_197:
	s_andn2_saveexec_b64 s[2:3], s[2:3]
	s_cbranch_execz .LBB30_199
; %bb.198:
	v_mov_b32_e32 v0, 0
	global_store_dwordx2 v0, v[14:15], s[6:7]
.LBB30_199:
	s_or_b64 exec, exec, s[2:3]
                                        ; implicit-def: $vgpr6_vgpr7_vgpr8_vgpr9
                                        ; implicit-def: $vgpr0_vgpr1
.LBB30_200:
	s_andn2_saveexec_b64 s[0:1], s[0:1]
	s_cbranch_execz .LBB30_205
; %bb.201:
	v_cmp_ne_u64_e32 vcc, 1, v[0:1]
	s_and_saveexec_b64 s[0:1], vcc
	s_xor_b64 s[0:1], exec, s[0:1]
	s_cbranch_execz .LBB30_203
; %bb.202:
	v_mov_b32_e32 v0, 0
	global_store_dwordx2 v0, v[6:7], s[6:7]
                                        ; implicit-def: $vgpr6_vgpr7_vgpr8_vgpr9
.LBB30_203:
	s_andn2_saveexec_b64 s[0:1], s[0:1]
	s_cbranch_execz .LBB30_205
; %bb.204:
	v_mov_b32_e32 v0, 0
	global_store_dwordx2 v0, v[8:9], s[6:7]
.LBB30_205:
	s_endpgm
	.section	.rodata,"a",@progbits
	.p2align	6, 0x0
	.amdhsa_kernel _ZN7rocprim17ROCPRIM_304000_NS6detail20lookback_scan_kernelILNS1_25lookback_scan_determinismE0ELb0ENS1_19wrapped_scan_configINS0_14default_configElEEPKlPlSt10multipliesIlEllNS1_19lookback_scan_stateIlLb0ELb1EEEEEvT2_T3_mT5_T4_T7_jPT6_SK_bb
		.amdhsa_group_segment_fixed_size 30720
		.amdhsa_private_segment_fixed_size 0
		.amdhsa_kernarg_size 76
		.amdhsa_user_sgpr_count 2
		.amdhsa_user_sgpr_dispatch_ptr 0
		.amdhsa_user_sgpr_queue_ptr 0
		.amdhsa_user_sgpr_kernarg_segment_ptr 1
		.amdhsa_user_sgpr_dispatch_id 0
		.amdhsa_user_sgpr_kernarg_preload_length 0
		.amdhsa_user_sgpr_kernarg_preload_offset 0
		.amdhsa_user_sgpr_private_segment_size 0
		.amdhsa_uses_dynamic_stack 0
		.amdhsa_enable_private_segment 0
		.amdhsa_system_sgpr_workgroup_id_x 1
		.amdhsa_system_sgpr_workgroup_id_y 0
		.amdhsa_system_sgpr_workgroup_id_z 0
		.amdhsa_system_sgpr_workgroup_info 0
		.amdhsa_system_vgpr_workitem_id 0
		.amdhsa_next_free_vgpr 67
		.amdhsa_next_free_sgpr 68
		.amdhsa_accum_offset 68
		.amdhsa_reserve_vcc 1
		.amdhsa_float_round_mode_32 0
		.amdhsa_float_round_mode_16_64 0
		.amdhsa_float_denorm_mode_32 3
		.amdhsa_float_denorm_mode_16_64 3
		.amdhsa_dx10_clamp 1
		.amdhsa_ieee_mode 1
		.amdhsa_fp16_overflow 0
		.amdhsa_tg_split 0
		.amdhsa_exception_fp_ieee_invalid_op 0
		.amdhsa_exception_fp_denorm_src 0
		.amdhsa_exception_fp_ieee_div_zero 0
		.amdhsa_exception_fp_ieee_overflow 0
		.amdhsa_exception_fp_ieee_underflow 0
		.amdhsa_exception_fp_ieee_inexact 0
		.amdhsa_exception_int_div_zero 0
	.end_amdhsa_kernel
	.section	.text._ZN7rocprim17ROCPRIM_304000_NS6detail20lookback_scan_kernelILNS1_25lookback_scan_determinismE0ELb0ENS1_19wrapped_scan_configINS0_14default_configElEEPKlPlSt10multipliesIlEllNS1_19lookback_scan_stateIlLb0ELb1EEEEEvT2_T3_mT5_T4_T7_jPT6_SK_bb,"axG",@progbits,_ZN7rocprim17ROCPRIM_304000_NS6detail20lookback_scan_kernelILNS1_25lookback_scan_determinismE0ELb0ENS1_19wrapped_scan_configINS0_14default_configElEEPKlPlSt10multipliesIlEllNS1_19lookback_scan_stateIlLb0ELb1EEEEEvT2_T3_mT5_T4_T7_jPT6_SK_bb,comdat
.Lfunc_end30:
	.size	_ZN7rocprim17ROCPRIM_304000_NS6detail20lookback_scan_kernelILNS1_25lookback_scan_determinismE0ELb0ENS1_19wrapped_scan_configINS0_14default_configElEEPKlPlSt10multipliesIlEllNS1_19lookback_scan_stateIlLb0ELb1EEEEEvT2_T3_mT5_T4_T7_jPT6_SK_bb, .Lfunc_end30-_ZN7rocprim17ROCPRIM_304000_NS6detail20lookback_scan_kernelILNS1_25lookback_scan_determinismE0ELb0ENS1_19wrapped_scan_configINS0_14default_configElEEPKlPlSt10multipliesIlEllNS1_19lookback_scan_stateIlLb0ELb1EEEEEvT2_T3_mT5_T4_T7_jPT6_SK_bb
                                        ; -- End function
	.section	.AMDGPU.csdata,"",@progbits
; Kernel info:
; codeLenInByte = 9440
; NumSgprs: 74
; NumVgprs: 67
; NumAgprs: 0
; TotalNumVgprs: 67
; ScratchSize: 0
; MemoryBound: 1
; FloatMode: 240
; IeeeMode: 1
; LDSByteSize: 30720 bytes/workgroup (compile time only)
; SGPRBlocks: 9
; VGPRBlocks: 8
; NumSGPRsForWavesPerEU: 74
; NumVGPRsForWavesPerEU: 67
; AccumOffset: 68
; Occupancy: 2
; WaveLimiterHint : 1
; COMPUTE_PGM_RSRC2:SCRATCH_EN: 0
; COMPUTE_PGM_RSRC2:USER_SGPR: 2
; COMPUTE_PGM_RSRC2:TRAP_HANDLER: 0
; COMPUTE_PGM_RSRC2:TGID_X_EN: 1
; COMPUTE_PGM_RSRC2:TGID_Y_EN: 0
; COMPUTE_PGM_RSRC2:TGID_Z_EN: 0
; COMPUTE_PGM_RSRC2:TIDIG_COMP_CNT: 0
; COMPUTE_PGM_RSRC3_GFX90A:ACCUM_OFFSET: 16
; COMPUTE_PGM_RSRC3_GFX90A:TG_SPLIT: 0
	.section	.text._ZN7rocprim17ROCPRIM_304000_NS6detail16transform_kernelINS1_24wrapped_transform_configINS0_14default_configElEElPlS6_NS0_8identityIlEEEEvT1_mT2_T3_,"axG",@progbits,_ZN7rocprim17ROCPRIM_304000_NS6detail16transform_kernelINS1_24wrapped_transform_configINS0_14default_configElEElPlS6_NS0_8identityIlEEEEvT1_mT2_T3_,comdat
	.protected	_ZN7rocprim17ROCPRIM_304000_NS6detail16transform_kernelINS1_24wrapped_transform_configINS0_14default_configElEElPlS6_NS0_8identityIlEEEEvT1_mT2_T3_ ; -- Begin function _ZN7rocprim17ROCPRIM_304000_NS6detail16transform_kernelINS1_24wrapped_transform_configINS0_14default_configElEElPlS6_NS0_8identityIlEEEEvT1_mT2_T3_
	.globl	_ZN7rocprim17ROCPRIM_304000_NS6detail16transform_kernelINS1_24wrapped_transform_configINS0_14default_configElEElPlS6_NS0_8identityIlEEEEvT1_mT2_T3_
	.p2align	8
	.type	_ZN7rocprim17ROCPRIM_304000_NS6detail16transform_kernelINS1_24wrapped_transform_configINS0_14default_configElEElPlS6_NS0_8identityIlEEEEvT1_mT2_T3_,@function
_ZN7rocprim17ROCPRIM_304000_NS6detail16transform_kernelINS1_24wrapped_transform_configINS0_14default_configElEElPlS6_NS0_8identityIlEEEEvT1_mT2_T3_: ; @_ZN7rocprim17ROCPRIM_304000_NS6detail16transform_kernelINS1_24wrapped_transform_configINS0_14default_configElEElPlS6_NS0_8identityIlEEEEvT1_mT2_T3_
; %bb.0:
	s_load_dword s3, s[0:1], 0x20
	s_load_dwordx4 s[4:7], s[0:1], 0x0
	s_load_dwordx2 s[8:9], s[0:1], 0x10
	s_lshl_b32 s0, s2, 9
	s_mov_b32 s1, 0
	s_waitcnt lgkmcnt(0)
	s_add_i32 s3, s3, -1
	s_lshl_b64 s[10:11], s[0:1], 3
	s_add_u32 s4, s4, s10
	s_addc_u32 s5, s5, s11
	v_mov_b32_e32 v7, 0
	v_lshlrev_b32_e32 v6, 3, v0
	s_cmp_lg_u32 s2, s3
	v_lshl_add_u64 v[8:9], s[4:5], 0, v[6:7]
	s_cbranch_scc0 .LBB31_2
; %bb.1:
	global_load_dwordx2 v[2:3], v[8:9], off
	global_load_dwordx2 v[4:5], v[8:9], off offset:2048
	s_add_u32 s2, s8, s10
	s_addc_u32 s3, s9, s11
	s_waitcnt vmcnt(1)
	global_store_dwordx2 v6, v[2:3], s[2:3]
	s_mov_b64 s[2:3], -1
	s_cbranch_execz .LBB31_3
	s_branch .LBB31_10
.LBB31_2:
	s_mov_b64 s[2:3], 0
                                        ; implicit-def: $vgpr4_vgpr5
.LBB31_3:
	s_sub_i32 s4, s6, s0
	v_cmp_gt_u32_e32 vcc, s4, v0
                                        ; implicit-def: $vgpr2_vgpr3_vgpr4_vgpr5
	s_and_saveexec_b64 s[0:1], vcc
	s_cbranch_execz .LBB31_5
; %bb.4:
	global_load_dwordx2 v[2:3], v[8:9], off
.LBB31_5:
	s_or_b64 exec, exec, s[0:1]
	v_or_b32_e32 v0, 0x100, v0
	v_cmp_gt_u32_e64 s[0:1], s4, v0
	s_and_saveexec_b64 s[4:5], s[0:1]
	s_cbranch_execnz .LBB31_13
; %bb.6:
	s_or_b64 exec, exec, s[4:5]
	s_and_saveexec_b64 s[4:5], vcc
	s_cbranch_execnz .LBB31_14
.LBB31_7:
	s_or_b64 exec, exec, s[4:5]
	s_and_saveexec_b64 s[4:5], s[0:1]
.LBB31_8:
	s_or_b64 s[2:3], s[2:3], exec
.LBB31_9:
	s_or_b64 exec, exec, s[4:5]
.LBB31_10:
	s_and_saveexec_b64 s[0:1], s[2:3]
	s_cbranch_execnz .LBB31_12
; %bb.11:
	s_endpgm
.LBB31_12:
	s_add_u32 s0, s8, s10
	s_addc_u32 s1, s9, s11
	s_waitcnt vmcnt(0)
	global_store_dwordx2 v6, v[4:5], s[0:1] offset:2048
	s_endpgm
.LBB31_13:
	global_load_dwordx2 v[4:5], v[8:9], off offset:2048
	s_or_b64 exec, exec, s[4:5]
	s_and_saveexec_b64 s[4:5], vcc
	s_cbranch_execz .LBB31_7
.LBB31_14:
	s_add_u32 s6, s8, s10
	s_addc_u32 s7, s9, s11
	s_waitcnt vmcnt(0)
	global_store_dwordx2 v6, v[2:3], s[6:7]
	s_or_b64 exec, exec, s[4:5]
	s_and_saveexec_b64 s[4:5], s[0:1]
	s_cbranch_execnz .LBB31_8
	s_branch .LBB31_9
	.section	.rodata,"a",@progbits
	.p2align	6, 0x0
	.amdhsa_kernel _ZN7rocprim17ROCPRIM_304000_NS6detail16transform_kernelINS1_24wrapped_transform_configINS0_14default_configElEElPlS6_NS0_8identityIlEEEEvT1_mT2_T3_
		.amdhsa_group_segment_fixed_size 0
		.amdhsa_private_segment_fixed_size 0
		.amdhsa_kernarg_size 288
		.amdhsa_user_sgpr_count 2
		.amdhsa_user_sgpr_dispatch_ptr 0
		.amdhsa_user_sgpr_queue_ptr 0
		.amdhsa_user_sgpr_kernarg_segment_ptr 1
		.amdhsa_user_sgpr_dispatch_id 0
		.amdhsa_user_sgpr_kernarg_preload_length 0
		.amdhsa_user_sgpr_kernarg_preload_offset 0
		.amdhsa_user_sgpr_private_segment_size 0
		.amdhsa_uses_dynamic_stack 0
		.amdhsa_enable_private_segment 0
		.amdhsa_system_sgpr_workgroup_id_x 1
		.amdhsa_system_sgpr_workgroup_id_y 0
		.amdhsa_system_sgpr_workgroup_id_z 0
		.amdhsa_system_sgpr_workgroup_info 0
		.amdhsa_system_vgpr_workitem_id 0
		.amdhsa_next_free_vgpr 10
		.amdhsa_next_free_sgpr 12
		.amdhsa_accum_offset 12
		.amdhsa_reserve_vcc 1
		.amdhsa_float_round_mode_32 0
		.amdhsa_float_round_mode_16_64 0
		.amdhsa_float_denorm_mode_32 3
		.amdhsa_float_denorm_mode_16_64 3
		.amdhsa_dx10_clamp 1
		.amdhsa_ieee_mode 1
		.amdhsa_fp16_overflow 0
		.amdhsa_tg_split 0
		.amdhsa_exception_fp_ieee_invalid_op 0
		.amdhsa_exception_fp_denorm_src 0
		.amdhsa_exception_fp_ieee_div_zero 0
		.amdhsa_exception_fp_ieee_overflow 0
		.amdhsa_exception_fp_ieee_underflow 0
		.amdhsa_exception_fp_ieee_inexact 0
		.amdhsa_exception_int_div_zero 0
	.end_amdhsa_kernel
	.section	.text._ZN7rocprim17ROCPRIM_304000_NS6detail16transform_kernelINS1_24wrapped_transform_configINS0_14default_configElEElPlS6_NS0_8identityIlEEEEvT1_mT2_T3_,"axG",@progbits,_ZN7rocprim17ROCPRIM_304000_NS6detail16transform_kernelINS1_24wrapped_transform_configINS0_14default_configElEElPlS6_NS0_8identityIlEEEEvT1_mT2_T3_,comdat
.Lfunc_end31:
	.size	_ZN7rocprim17ROCPRIM_304000_NS6detail16transform_kernelINS1_24wrapped_transform_configINS0_14default_configElEElPlS6_NS0_8identityIlEEEEvT1_mT2_T3_, .Lfunc_end31-_ZN7rocprim17ROCPRIM_304000_NS6detail16transform_kernelINS1_24wrapped_transform_configINS0_14default_configElEElPlS6_NS0_8identityIlEEEEvT1_mT2_T3_
                                        ; -- End function
	.section	.AMDGPU.csdata,"",@progbits
; Kernel info:
; codeLenInByte = 300
; NumSgprs: 18
; NumVgprs: 10
; NumAgprs: 0
; TotalNumVgprs: 10
; ScratchSize: 0
; MemoryBound: 1
; FloatMode: 240
; IeeeMode: 1
; LDSByteSize: 0 bytes/workgroup (compile time only)
; SGPRBlocks: 2
; VGPRBlocks: 1
; NumSGPRsForWavesPerEU: 18
; NumVGPRsForWavesPerEU: 10
; AccumOffset: 12
; Occupancy: 8
; WaveLimiterHint : 1
; COMPUTE_PGM_RSRC2:SCRATCH_EN: 0
; COMPUTE_PGM_RSRC2:USER_SGPR: 2
; COMPUTE_PGM_RSRC2:TRAP_HANDLER: 0
; COMPUTE_PGM_RSRC2:TGID_X_EN: 1
; COMPUTE_PGM_RSRC2:TGID_Y_EN: 0
; COMPUTE_PGM_RSRC2:TGID_Z_EN: 0
; COMPUTE_PGM_RSRC2:TIDIG_COMP_CNT: 0
; COMPUTE_PGM_RSRC3_GFX90A:ACCUM_OFFSET: 2
; COMPUTE_PGM_RSRC3_GFX90A:TG_SPLIT: 0
	.section	.text._ZN7rocprim17ROCPRIM_304000_NS6detail18single_scan_kernelILb0ENS1_19wrapped_scan_configINS0_14default_configElEEPKlPlSt10multipliesIlEllEEvT1_mT4_T2_T3_,"axG",@progbits,_ZN7rocprim17ROCPRIM_304000_NS6detail18single_scan_kernelILb0ENS1_19wrapped_scan_configINS0_14default_configElEEPKlPlSt10multipliesIlEllEEvT1_mT4_T2_T3_,comdat
	.protected	_ZN7rocprim17ROCPRIM_304000_NS6detail18single_scan_kernelILb0ENS1_19wrapped_scan_configINS0_14default_configElEEPKlPlSt10multipliesIlEllEEvT1_mT4_T2_T3_ ; -- Begin function _ZN7rocprim17ROCPRIM_304000_NS6detail18single_scan_kernelILb0ENS1_19wrapped_scan_configINS0_14default_configElEEPKlPlSt10multipliesIlEllEEvT1_mT4_T2_T3_
	.globl	_ZN7rocprim17ROCPRIM_304000_NS6detail18single_scan_kernelILb0ENS1_19wrapped_scan_configINS0_14default_configElEEPKlPlSt10multipliesIlEllEEvT1_mT4_T2_T3_
	.p2align	8
	.type	_ZN7rocprim17ROCPRIM_304000_NS6detail18single_scan_kernelILb0ENS1_19wrapped_scan_configINS0_14default_configElEEPKlPlSt10multipliesIlEllEEvT1_mT4_T2_T3_,@function
_ZN7rocprim17ROCPRIM_304000_NS6detail18single_scan_kernelILb0ENS1_19wrapped_scan_configINS0_14default_configElEEPKlPlSt10multipliesIlEllEEvT1_mT4_T2_T3_: ; @_ZN7rocprim17ROCPRIM_304000_NS6detail18single_scan_kernelILb0ENS1_19wrapped_scan_configINS0_14default_configElEEPKlPlSt10multipliesIlEllEEvT1_mT4_T2_T3_
; %bb.0:
	s_load_dwordx4 s[28:31], s[0:1], 0x0
	v_mov_b32_e32 v39, 0
	v_lshlrev_b32_e32 v38, 3, v0
	s_waitcnt lgkmcnt(0)
	s_load_dwordx2 s[36:37], s[28:29], 0x0
	v_lshl_add_u64 v[34:35], s[28:29], 0, v[38:39]
	v_cmp_gt_u32_e64 s[4:5], s30, v0
	s_waitcnt lgkmcnt(0)
	s_mov_b32 s38, s36
	s_mov_b32 s39, s37
	;; [unrolled: 1-line block ×28, first 2 shown]
	v_mov_b64_e32 v[2:3], s[36:37]
	v_mov_b64_e32 v[4:5], s[38:39]
	;; [unrolled: 1-line block ×16, first 2 shown]
	s_and_saveexec_b64 s[2:3], s[4:5]
	s_cbranch_execz .LBB32_2
; %bb.1:
	global_load_dwordx2 v[2:3], v[34:35], off
	v_mov_b32_e32 v4, s36
	v_mov_b32_e32 v5, s37
	;; [unrolled: 1-line block ×28, first 2 shown]
.LBB32_2:
	s_or_b64 exec, exec, s[2:3]
	v_or_b32_e32 v1, 0x100, v0
	v_cmp_gt_u32_e64 s[2:3], s30, v1
	s_and_saveexec_b64 s[6:7], s[2:3]
	s_cbranch_execz .LBB32_4
; %bb.3:
	global_load_dwordx2 v[4:5], v[34:35], off offset:2048
.LBB32_4:
	s_or_b64 exec, exec, s[6:7]
	v_or_b32_e32 v1, 0x200, v0
	v_cmp_gt_u32_e64 s[6:7], s30, v1
	s_and_saveexec_b64 s[8:9], s[6:7]
	s_cbranch_execz .LBB32_6
; %bb.5:
	v_add_co_u32_e32 v6, vcc, 0x1000, v34
	s_nop 1
	v_addc_co_u32_e32 v7, vcc, 0, v35, vcc
	global_load_dwordx2 v[6:7], v[6:7], off
.LBB32_6:
	s_or_b64 exec, exec, s[8:9]
	v_or_b32_e32 v1, 0x300, v0
	v_cmp_gt_u32_e64 s[8:9], s30, v1
	s_and_saveexec_b64 s[10:11], s[8:9]
	s_cbranch_execz .LBB32_8
; %bb.7:
	v_add_co_u32_e32 v8, vcc, 0x1000, v34
	s_nop 1
	v_addc_co_u32_e32 v9, vcc, 0, v35, vcc
	global_load_dwordx2 v[8:9], v[8:9], off offset:2048
.LBB32_8:
	s_or_b64 exec, exec, s[10:11]
	v_or_b32_e32 v1, 0x400, v0
	v_cmp_gt_u32_e64 s[10:11], s30, v1
	s_and_saveexec_b64 s[12:13], s[10:11]
	s_cbranch_execz .LBB32_10
; %bb.9:
	v_add_co_u32_e32 v10, vcc, 0x2000, v34
	s_nop 1
	v_addc_co_u32_e32 v11, vcc, 0, v35, vcc
	global_load_dwordx2 v[10:11], v[10:11], off
.LBB32_10:
	s_or_b64 exec, exec, s[12:13]
	v_or_b32_e32 v1, 0x500, v0
	v_cmp_gt_u32_e64 s[12:13], s30, v1
	s_and_saveexec_b64 s[14:15], s[12:13]
	s_cbranch_execz .LBB32_12
; %bb.11:
	v_add_co_u32_e32 v12, vcc, 0x2000, v34
	s_nop 1
	v_addc_co_u32_e32 v13, vcc, 0, v35, vcc
	global_load_dwordx2 v[12:13], v[12:13], off offset:2048
.LBB32_12:
	;; [unrolled: 22-line block ×6, first 2 shown]
	s_or_b64 exec, exec, s[34:35]
	v_or_b32_e32 v1, 0xe00, v0
	v_cmp_gt_u32_e64 s[30:31], s30, v1
	s_and_saveexec_b64 s[34:35], s[30:31]
	s_cbranch_execz .LBB32_30
; %bb.29:
	v_add_co_u32_e32 v30, vcc, 0x7000, v34
	s_nop 1
	v_addc_co_u32_e32 v31, vcc, 0, v35, vcc
	global_load_dwordx2 v[30:31], v[30:31], off
.LBB32_30:
	s_or_b64 exec, exec, s[34:35]
	s_movk_i32 s33, 0x70
	v_mad_u32_u24 v1, v0, s33, v38
	s_waitcnt vmcnt(0)
	ds_write2st64_b64 v38, v[2:3], v[4:5] offset1:4
	ds_write2st64_b64 v38, v[6:7], v[8:9] offset0:8 offset1:12
	ds_write2st64_b64 v38, v[10:11], v[12:13] offset0:16 offset1:20
	;; [unrolled: 1-line block ×6, first 2 shown]
	ds_write_b64 v38, v[30:31] offset:28672
	s_waitcnt lgkmcnt(0)
	s_barrier
	ds_read2_b64 v[26:29], v1 offset1:1
	ds_read2_b64 v[22:25], v1 offset0:2 offset1:3
	ds_read2_b64 v[18:21], v1 offset0:4 offset1:5
	;; [unrolled: 1-line block ×6, first 2 shown]
	ds_read_b64 v[40:41], v1 offset:112
	s_waitcnt lgkmcnt(7)
	v_mul_lo_u32 v1, v29, v26
	v_mul_lo_u32 v32, v28, v27
	v_mad_u64_u32 v[30:31], s[34:35], v28, v26, 0
	v_add3_u32 v1, v31, v32, v1
	s_waitcnt lgkmcnt(6)
	v_mul_lo_u32 v1, v1, v22
	v_mul_lo_u32 v32, v30, v23
	v_mad_u64_u32 v[30:31], s[34:35], v30, v22, 0
	v_add3_u32 v1, v31, v32, v1
	v_mul_lo_u32 v1, v1, v24
	v_mul_lo_u32 v32, v30, v25
	v_mad_u64_u32 v[30:31], s[34:35], v30, v24, 0
	v_add3_u32 v1, v31, v32, v1
	s_waitcnt lgkmcnt(5)
	v_mul_lo_u32 v1, v1, v18
	v_mul_lo_u32 v32, v30, v19
	v_mad_u64_u32 v[30:31], s[34:35], v30, v18, 0
	v_add3_u32 v1, v31, v32, v1
	;; [unrolled: 9-line block ×7, first 2 shown]
	v_lshrrev_b32_e32 v1, 2, v0
	v_and_b32_e32 v1, 56, v1
	v_add_u32_e32 v1, v38, v1
	v_cmp_gt_u32_e32 vcc, 64, v0
	s_barrier
	ds_write_b64 v1, v[42:43]
	s_waitcnt lgkmcnt(0)
	s_barrier
	s_and_saveexec_b64 s[34:35], vcc
	s_cbranch_execz .LBB32_44
; %bb.31:
	v_lshlrev_b32_e32 v1, 2, v0
	v_lshrrev_b32_e32 v30, 3, v0
	v_add_lshl_u32 v1, v30, v1, 3
	ds_read2_b64 v[34:37], v1 offset1:1
	ds_read2_b64 v[30:33], v1 offset0:2 offset1:3
	s_waitcnt lgkmcnt(1)
	v_mul_lo_u32 v39, v37, v34
	v_mul_lo_u32 v46, v36, v35
	v_mad_u64_u32 v[44:45], s[36:37], v36, v34, 0
	v_add3_u32 v39, v45, v46, v39
	s_waitcnt lgkmcnt(0)
	v_mul_lo_u32 v39, v39, v30
	v_mul_lo_u32 v46, v44, v31
	v_mad_u64_u32 v[44:45], s[36:37], v44, v30, 0
	v_add3_u32 v39, v45, v46, v39
	v_mul_lo_u32 v39, v39, v32
	v_mul_lo_u32 v46, v44, v33
	v_mad_u64_u32 v[44:45], s[36:37], v44, v32, 0
	v_add3_u32 v45, v45, v46, v39
	v_mbcnt_lo_u32_b32 v39, -1, 0
	v_mbcnt_hi_u32_b32 v39, -1, v39
	v_and_b32_e32 v46, 15, v39
	v_mov_b32_dpp v47, v44 row_shr:1 row_mask:0xf bank_mask:0xf
	v_mov_b32_dpp v48, v45 row_shr:1 row_mask:0xf bank_mask:0xf
	v_cmp_ne_u32_e32 vcc, 0, v46
	s_and_saveexec_b64 s[36:37], vcc
; %bb.32:
	v_mul_lo_u32 v48, v48, v44
	v_mul_lo_u32 v49, v47, v45
	v_mad_u64_u32 v[44:45], s[38:39], v47, v44, 0
	v_add3_u32 v45, v45, v49, v48
; %bb.33:
	s_or_b64 exec, exec, s[36:37]
	v_mov_b32_dpp v47, v44 row_shr:2 row_mask:0xf bank_mask:0xf
	v_mov_b32_dpp v48, v45 row_shr:2 row_mask:0xf bank_mask:0xf
	v_cmp_lt_u32_e32 vcc, 1, v46
	s_and_saveexec_b64 s[36:37], vcc
; %bb.34:
	v_mul_lo_u32 v48, v48, v44
	v_mul_lo_u32 v49, v47, v45
	v_mad_u64_u32 v[44:45], s[38:39], v47, v44, 0
	v_add3_u32 v45, v45, v49, v48
; %bb.35:
	s_or_b64 exec, exec, s[36:37]
	v_mov_b32_dpp v47, v44 row_shr:4 row_mask:0xf bank_mask:0xf
	v_mov_b32_dpp v48, v45 row_shr:4 row_mask:0xf bank_mask:0xf
	v_cmp_lt_u32_e32 vcc, 3, v46
	;; [unrolled: 11-line block ×3, first 2 shown]
	s_and_saveexec_b64 s[36:37], vcc
; %bb.38:
	v_mul_lo_u32 v46, v48, v44
	v_mul_lo_u32 v48, v47, v45
	v_mad_u64_u32 v[44:45], s[38:39], v47, v44, 0
	v_add3_u32 v45, v45, v48, v46
; %bb.39:
	s_or_b64 exec, exec, s[36:37]
	v_and_b32_e32 v48, 16, v39
	v_mov_b32_dpp v46, v44 row_bcast:15 row_mask:0xf bank_mask:0xf
	v_mov_b32_dpp v47, v45 row_bcast:15 row_mask:0xf bank_mask:0xf
	v_cmp_ne_u32_e32 vcc, 0, v48
	s_and_saveexec_b64 s[36:37], vcc
; %bb.40:
	v_mul_lo_u32 v47, v47, v44
	v_mul_lo_u32 v48, v46, v45
	v_mad_u64_u32 v[44:45], s[38:39], v46, v44, 0
	v_add3_u32 v45, v45, v48, v47
; %bb.41:
	s_or_b64 exec, exec, s[36:37]
	v_mov_b32_dpp v46, v44 row_bcast:31 row_mask:0xf bank_mask:0xf
	v_mov_b32_dpp v47, v45 row_bcast:31 row_mask:0xf bank_mask:0xf
	v_cmp_lt_u32_e32 vcc, 31, v39
	s_and_saveexec_b64 s[36:37], vcc
; %bb.42:
	v_mul_lo_u32 v47, v47, v44
	v_mul_lo_u32 v48, v46, v45
	v_mad_u64_u32 v[44:45], s[38:39], v46, v44, 0
	v_add3_u32 v45, v45, v48, v47
; %bb.43:
	s_or_b64 exec, exec, s[36:37]
	v_add_u32_e32 v46, -1, v39
	v_and_b32_e32 v47, 64, v39
	v_cmp_lt_i32_e32 vcc, v46, v47
	s_nop 1
	v_cndmask_b32_e32 v39, v46, v39, vcc
	v_lshlrev_b32_e32 v39, 2, v39
	ds_bpermute_b32 v45, v39, v45
	ds_bpermute_b32 v39, v39, v44
	v_cmp_eq_u32_e32 vcc, 0, v0
	s_waitcnt lgkmcnt(1)
	v_mul_lo_u32 v44, v45, v34
	s_waitcnt lgkmcnt(0)
	v_mul_lo_u32 v45, v39, v35
	v_mad_u64_u32 v[34:35], s[36:37], v39, v34, 0
	v_add3_u32 v35, v35, v45, v44
	v_cndmask_b32_e32 v35, v35, v43, vcc
	v_cndmask_b32_e32 v34, v34, v42, vcc
	v_mul_lo_u32 v39, v35, v36
	v_mul_lo_u32 v42, v34, v37
	v_mad_u64_u32 v[36:37], s[36:37], v34, v36, 0
	v_add3_u32 v37, v37, v42, v39
	ds_write2_b64 v1, v[34:35], v[36:37] offset1:1
	v_mul_lo_u32 v34, v37, v30
	v_mul_lo_u32 v35, v36, v31
	v_mad_u64_u32 v[30:31], s[36:37], v36, v30, 0
	v_add3_u32 v31, v31, v35, v34
	v_mul_lo_u32 v34, v31, v32
	v_mul_lo_u32 v35, v30, v33
	v_mad_u64_u32 v[32:33], s[36:37], v30, v32, 0
	v_add3_u32 v33, v33, v35, v34
	ds_write2_b64 v1, v[30:31], v[32:33] offset0:2 offset1:3
.LBB32_44:
	s_or_b64 exec, exec, s[34:35]
	v_mul_u32_u24_e32 v1, 0x70, v0
	v_cmp_ne_u32_e32 vcc, 0, v0
	v_mov_b64_e32 v[30:31], 1
	s_waitcnt lgkmcnt(0)
	s_barrier
	s_and_saveexec_b64 s[34:35], vcc
	s_cbranch_execz .LBB32_46
; %bb.45:
	v_add_u32_e32 v0, -1, v0
	v_lshrrev_b32_e32 v30, 5, v0
	v_add_lshl_u32 v0, v30, v0, 3
	ds_read_b64 v[30:31], v0
.LBB32_46:
	s_or_b64 exec, exec, s[34:35]
	s_waitcnt lgkmcnt(0)
	v_mul_lo_u32 v0, v31, v26
	v_mul_lo_u32 v31, v30, v27
	v_mad_u64_u32 v[26:27], s[34:35], v30, v26, 0
	v_add3_u32 v27, v27, v31, v0
	v_mul_lo_u32 v0, v27, v28
	v_mul_lo_u32 v30, v26, v29
	v_mad_u64_u32 v[28:29], s[34:35], v26, v28, 0
	v_add3_u32 v29, v29, v30, v0
	;; [unrolled: 4-line block ×15, first 2 shown]
	v_add_u32_e32 v0, v38, v1
	s_barrier
	ds_write2_b64 v0, v[26:27], v[28:29] offset1:1
	ds_write2_b64 v0, v[22:23], v[24:25] offset0:2 offset1:3
	ds_write2_b64 v0, v[18:19], v[20:21] offset0:4 offset1:5
	;; [unrolled: 1-line block ×6, first 2 shown]
	ds_write_b64 v0, v[30:31] offset:112
	s_waitcnt lgkmcnt(0)
	s_barrier
	ds_read2st64_b64 v[24:27], v38 offset0:4 offset1:8
	ds_read2st64_b64 v[20:23], v38 offset0:12 offset1:16
	;; [unrolled: 1-line block ×7, first 2 shown]
	s_load_dwordx2 s[0:1], s[0:1], 0x18
	v_mov_b32_e32 v39, 0
	s_waitcnt lgkmcnt(0)
	v_lshl_add_u64 v[28:29], s[0:1], 0, v[38:39]
	s_and_saveexec_b64 s[0:1], s[4:5]
	s_cbranch_execnz .LBB32_62
; %bb.47:
	s_or_b64 exec, exec, s[0:1]
	s_and_saveexec_b64 s[0:1], s[2:3]
	s_cbranch_execnz .LBB32_63
.LBB32_48:
	s_or_b64 exec, exec, s[0:1]
	s_and_saveexec_b64 s[0:1], s[6:7]
	s_cbranch_execnz .LBB32_64
.LBB32_49:
	s_or_b64 exec, exec, s[0:1]
	s_and_saveexec_b64 s[0:1], s[8:9]
	s_cbranch_execnz .LBB32_65
.LBB32_50:
	s_or_b64 exec, exec, s[0:1]
	s_and_saveexec_b64 s[0:1], s[10:11]
	s_cbranch_execnz .LBB32_66
.LBB32_51:
	s_or_b64 exec, exec, s[0:1]
	s_and_saveexec_b64 s[0:1], s[12:13]
	s_cbranch_execnz .LBB32_67
.LBB32_52:
	s_or_b64 exec, exec, s[0:1]
	s_and_saveexec_b64 s[0:1], s[14:15]
	s_cbranch_execnz .LBB32_68
.LBB32_53:
	s_or_b64 exec, exec, s[0:1]
	s_and_saveexec_b64 s[0:1], s[16:17]
	s_cbranch_execnz .LBB32_69
.LBB32_54:
	s_or_b64 exec, exec, s[0:1]
	s_and_saveexec_b64 s[0:1], s[18:19]
	s_cbranch_execnz .LBB32_70
.LBB32_55:
	s_or_b64 exec, exec, s[0:1]
	s_and_saveexec_b64 s[0:1], s[20:21]
	s_cbranch_execnz .LBB32_71
.LBB32_56:
	s_or_b64 exec, exec, s[0:1]
	s_and_saveexec_b64 s[0:1], s[22:23]
	s_cbranch_execnz .LBB32_72
.LBB32_57:
	s_or_b64 exec, exec, s[0:1]
	s_and_saveexec_b64 s[0:1], s[24:25]
	s_cbranch_execnz .LBB32_73
.LBB32_58:
	s_or_b64 exec, exec, s[0:1]
	s_and_saveexec_b64 s[0:1], s[26:27]
	s_cbranch_execnz .LBB32_74
.LBB32_59:
	s_or_b64 exec, exec, s[0:1]
	s_and_saveexec_b64 s[0:1], s[28:29]
	s_cbranch_execnz .LBB32_75
.LBB32_60:
	s_or_b64 exec, exec, s[0:1]
	s_and_saveexec_b64 s[0:1], s[30:31]
	s_cbranch_execnz .LBB32_76
.LBB32_61:
	s_endpgm
.LBB32_62:
	ds_read_b64 v[30:31], v38
	s_waitcnt lgkmcnt(0)
	global_store_dwordx2 v[28:29], v[30:31], off
	s_or_b64 exec, exec, s[0:1]
	s_and_saveexec_b64 s[0:1], s[2:3]
	s_cbranch_execz .LBB32_48
.LBB32_63:
	global_store_dwordx2 v[28:29], v[24:25], off offset:2048
	s_or_b64 exec, exec, s[0:1]
	s_and_saveexec_b64 s[0:1], s[6:7]
	s_cbranch_execz .LBB32_49
.LBB32_64:
	v_add_co_u32_e32 v24, vcc, 0x1000, v28
	s_nop 1
	v_addc_co_u32_e32 v25, vcc, 0, v29, vcc
	global_store_dwordx2 v[24:25], v[26:27], off
	s_or_b64 exec, exec, s[0:1]
	s_and_saveexec_b64 s[0:1], s[8:9]
	s_cbranch_execz .LBB32_50
.LBB32_65:
	v_add_co_u32_e32 v24, vcc, 0x1000, v28
	s_nop 1
	v_addc_co_u32_e32 v25, vcc, 0, v29, vcc
	global_store_dwordx2 v[24:25], v[20:21], off offset:2048
	s_or_b64 exec, exec, s[0:1]
	s_and_saveexec_b64 s[0:1], s[10:11]
	s_cbranch_execz .LBB32_51
.LBB32_66:
	v_add_co_u32_e32 v20, vcc, 0x2000, v28
	s_nop 1
	v_addc_co_u32_e32 v21, vcc, 0, v29, vcc
	global_store_dwordx2 v[20:21], v[22:23], off
	s_or_b64 exec, exec, s[0:1]
	s_and_saveexec_b64 s[0:1], s[12:13]
	s_cbranch_execz .LBB32_52
.LBB32_67:
	v_add_co_u32_e32 v20, vcc, 0x2000, v28
	s_nop 1
	v_addc_co_u32_e32 v21, vcc, 0, v29, vcc
	global_store_dwordx2 v[20:21], v[16:17], off offset:2048
	s_or_b64 exec, exec, s[0:1]
	s_and_saveexec_b64 s[0:1], s[14:15]
	s_cbranch_execz .LBB32_53
.LBB32_68:
	v_add_co_u32_e32 v16, vcc, 0x3000, v28
	s_nop 1
	v_addc_co_u32_e32 v17, vcc, 0, v29, vcc
	global_store_dwordx2 v[16:17], v[18:19], off
	s_or_b64 exec, exec, s[0:1]
	s_and_saveexec_b64 s[0:1], s[16:17]
	s_cbranch_execz .LBB32_54
.LBB32_69:
	v_add_co_u32_e32 v16, vcc, 0x3000, v28
	s_nop 1
	v_addc_co_u32_e32 v17, vcc, 0, v29, vcc
	global_store_dwordx2 v[16:17], v[12:13], off offset:2048
	s_or_b64 exec, exec, s[0:1]
	s_and_saveexec_b64 s[0:1], s[18:19]
	s_cbranch_execz .LBB32_55
.LBB32_70:
	v_add_co_u32_e32 v12, vcc, 0x4000, v28
	s_nop 1
	v_addc_co_u32_e32 v13, vcc, 0, v29, vcc
	global_store_dwordx2 v[12:13], v[14:15], off
	s_or_b64 exec, exec, s[0:1]
	s_and_saveexec_b64 s[0:1], s[20:21]
	s_cbranch_execz .LBB32_56
.LBB32_71:
	v_add_co_u32_e32 v12, vcc, 0x4000, v28
	s_nop 1
	v_addc_co_u32_e32 v13, vcc, 0, v29, vcc
	global_store_dwordx2 v[12:13], v[8:9], off offset:2048
	s_or_b64 exec, exec, s[0:1]
	s_and_saveexec_b64 s[0:1], s[22:23]
	s_cbranch_execz .LBB32_57
.LBB32_72:
	v_add_co_u32_e32 v8, vcc, 0x5000, v28
	s_nop 1
	v_addc_co_u32_e32 v9, vcc, 0, v29, vcc
	global_store_dwordx2 v[8:9], v[10:11], off
	s_or_b64 exec, exec, s[0:1]
	s_and_saveexec_b64 s[0:1], s[24:25]
	s_cbranch_execz .LBB32_58
.LBB32_73:
	v_add_co_u32_e32 v8, vcc, 0x5000, v28
	s_nop 1
	v_addc_co_u32_e32 v9, vcc, 0, v29, vcc
	global_store_dwordx2 v[8:9], v[4:5], off offset:2048
	s_or_b64 exec, exec, s[0:1]
	s_and_saveexec_b64 s[0:1], s[26:27]
	s_cbranch_execz .LBB32_59
.LBB32_74:
	v_add_co_u32_e32 v4, vcc, 0x6000, v28
	s_nop 1
	v_addc_co_u32_e32 v5, vcc, 0, v29, vcc
	global_store_dwordx2 v[4:5], v[6:7], off
	s_or_b64 exec, exec, s[0:1]
	s_and_saveexec_b64 s[0:1], s[28:29]
	s_cbranch_execz .LBB32_60
.LBB32_75:
	v_add_co_u32_e32 v4, vcc, 0x6000, v28
	s_nop 1
	v_addc_co_u32_e32 v5, vcc, 0, v29, vcc
	global_store_dwordx2 v[4:5], v[0:1], off offset:2048
	s_or_b64 exec, exec, s[0:1]
	s_and_saveexec_b64 s[0:1], s[30:31]
	s_cbranch_execz .LBB32_61
.LBB32_76:
	v_add_co_u32_e32 v0, vcc, 0x7000, v28
	s_nop 1
	v_addc_co_u32_e32 v1, vcc, 0, v29, vcc
	global_store_dwordx2 v[0:1], v[2:3], off
	s_endpgm
	.section	.rodata,"a",@progbits
	.p2align	6, 0x0
	.amdhsa_kernel _ZN7rocprim17ROCPRIM_304000_NS6detail18single_scan_kernelILb0ENS1_19wrapped_scan_configINS0_14default_configElEEPKlPlSt10multipliesIlEllEEvT1_mT4_T2_T3_
		.amdhsa_group_segment_fixed_size 30720
		.amdhsa_private_segment_fixed_size 0
		.amdhsa_kernarg_size 36
		.amdhsa_user_sgpr_count 2
		.amdhsa_user_sgpr_dispatch_ptr 0
		.amdhsa_user_sgpr_queue_ptr 0
		.amdhsa_user_sgpr_kernarg_segment_ptr 1
		.amdhsa_user_sgpr_dispatch_id 0
		.amdhsa_user_sgpr_kernarg_preload_length 0
		.amdhsa_user_sgpr_kernarg_preload_offset 0
		.amdhsa_user_sgpr_private_segment_size 0
		.amdhsa_uses_dynamic_stack 0
		.amdhsa_enable_private_segment 0
		.amdhsa_system_sgpr_workgroup_id_x 1
		.amdhsa_system_sgpr_workgroup_id_y 0
		.amdhsa_system_sgpr_workgroup_id_z 0
		.amdhsa_system_sgpr_workgroup_info 0
		.amdhsa_system_vgpr_workitem_id 0
		.amdhsa_next_free_vgpr 50
		.amdhsa_next_free_sgpr 68
		.amdhsa_accum_offset 52
		.amdhsa_reserve_vcc 1
		.amdhsa_float_round_mode_32 0
		.amdhsa_float_round_mode_16_64 0
		.amdhsa_float_denorm_mode_32 3
		.amdhsa_float_denorm_mode_16_64 3
		.amdhsa_dx10_clamp 1
		.amdhsa_ieee_mode 1
		.amdhsa_fp16_overflow 0
		.amdhsa_tg_split 0
		.amdhsa_exception_fp_ieee_invalid_op 0
		.amdhsa_exception_fp_denorm_src 0
		.amdhsa_exception_fp_ieee_div_zero 0
		.amdhsa_exception_fp_ieee_overflow 0
		.amdhsa_exception_fp_ieee_underflow 0
		.amdhsa_exception_fp_ieee_inexact 0
		.amdhsa_exception_int_div_zero 0
	.end_amdhsa_kernel
	.section	.text._ZN7rocprim17ROCPRIM_304000_NS6detail18single_scan_kernelILb0ENS1_19wrapped_scan_configINS0_14default_configElEEPKlPlSt10multipliesIlEllEEvT1_mT4_T2_T3_,"axG",@progbits,_ZN7rocprim17ROCPRIM_304000_NS6detail18single_scan_kernelILb0ENS1_19wrapped_scan_configINS0_14default_configElEEPKlPlSt10multipliesIlEllEEvT1_mT4_T2_T3_,comdat
.Lfunc_end32:
	.size	_ZN7rocprim17ROCPRIM_304000_NS6detail18single_scan_kernelILb0ENS1_19wrapped_scan_configINS0_14default_configElEEPKlPlSt10multipliesIlEllEEvT1_mT4_T2_T3_, .Lfunc_end32-_ZN7rocprim17ROCPRIM_304000_NS6detail18single_scan_kernelILb0ENS1_19wrapped_scan_configINS0_14default_configElEEPKlPlSt10multipliesIlEllEEvT1_mT4_T2_T3_
                                        ; -- End function
	.section	.AMDGPU.csdata,"",@progbits
; Kernel info:
; codeLenInByte = 3868
; NumSgprs: 74
; NumVgprs: 50
; NumAgprs: 0
; TotalNumVgprs: 50
; ScratchSize: 0
; MemoryBound: 1
; FloatMode: 240
; IeeeMode: 1
; LDSByteSize: 30720 bytes/workgroup (compile time only)
; SGPRBlocks: 9
; VGPRBlocks: 6
; NumSGPRsForWavesPerEU: 74
; NumVGPRsForWavesPerEU: 50
; AccumOffset: 52
; Occupancy: 2
; WaveLimiterHint : 0
; COMPUTE_PGM_RSRC2:SCRATCH_EN: 0
; COMPUTE_PGM_RSRC2:USER_SGPR: 2
; COMPUTE_PGM_RSRC2:TRAP_HANDLER: 0
; COMPUTE_PGM_RSRC2:TGID_X_EN: 1
; COMPUTE_PGM_RSRC2:TGID_Y_EN: 0
; COMPUTE_PGM_RSRC2:TGID_Z_EN: 0
; COMPUTE_PGM_RSRC2:TIDIG_COMP_CNT: 0
; COMPUTE_PGM_RSRC3_GFX90A:ACCUM_OFFSET: 12
; COMPUTE_PGM_RSRC3_GFX90A:TG_SPLIT: 0
	.section	.text._ZN2at6native32tensor_kernel_scan_innermost_dimIlSt10multipliesIlEEEvPT_PKS4_jjjS4_T0_,"axG",@progbits,_ZN2at6native32tensor_kernel_scan_innermost_dimIlSt10multipliesIlEEEvPT_PKS4_jjjS4_T0_,comdat
	.protected	_ZN2at6native32tensor_kernel_scan_innermost_dimIlSt10multipliesIlEEEvPT_PKS4_jjjS4_T0_ ; -- Begin function _ZN2at6native32tensor_kernel_scan_innermost_dimIlSt10multipliesIlEEEvPT_PKS4_jjjS4_T0_
	.globl	_ZN2at6native32tensor_kernel_scan_innermost_dimIlSt10multipliesIlEEEvPT_PKS4_jjjS4_T0_
	.p2align	8
	.type	_ZN2at6native32tensor_kernel_scan_innermost_dimIlSt10multipliesIlEEEvPT_PKS4_jjjS4_T0_,@function
_ZN2at6native32tensor_kernel_scan_innermost_dimIlSt10multipliesIlEEEvPT_PKS4_jjjS4_T0_: ; @_ZN2at6native32tensor_kernel_scan_innermost_dimIlSt10multipliesIlEEEvPT_PKS4_jjjS4_T0_
; %bb.0:
	s_load_dwordx8 s[12:19], s[0:1], 0x0
	s_load_dwordx2 s[20:21], s[0:1], 0x20
	v_bfe_u32 v2, v0, 10, 10
	s_waitcnt lgkmcnt(0)
	s_lshl_b32 s3, 2, s18
	v_mul_lo_u32 v1, s3, v2
	s_mul_hi_u32 s4, s16, s17
	s_mov_b32 s22, s16
	v_lshl_add_u32 v16, v1, 3, 0
	s_cmp_lg_u32 s4, 0
	s_mov_b64 s[4:5], -1
	s_cbranch_scc1 .LBB33_26
; %bb.1:
	s_load_dword s6, s[0:1], 0x3c
	s_add_u32 s4, s0, 48
	s_addc_u32 s5, s1, 0
	s_waitcnt lgkmcnt(0)
	s_lshr_b32 s6, s6, 16
	s_mul_i32 s19, s2, s6
	s_cmp_ge_u32 s19, s16
	s_cbranch_scc1 .LBB33_25
; %bb.2:
	s_load_dword s28, s[4:5], 0x0
	s_lshl_b32 s23, 1, s18
	s_cmp_lg_u32 s17, 0
	v_and_b32_e32 v1, 0x3ff, v0
	s_cselect_b64 s[4:5], -1, 0
	v_lshl_add_u32 v3, v1, 3, v16
	v_add_u32_e32 v18, -8, v16
	v_cndmask_b32_e64 v4, 0, 1, s[4:5]
	v_lshl_add_u32 v17, s23, 3, v3
	v_cmp_eq_u32_e64 s[8:9], 0, v1
	v_lshl_add_u32 v19, s3, 3, v18
	s_waitcnt lgkmcnt(0)
	s_mul_i32 s28, s28, s6
	s_add_i32 s29, s18, 1
	v_cmp_ne_u32_e64 s[4:5], 1, v4
	v_mov_b32_e32 v5, 0
	s_branch .LBB33_4
.LBB33_3:                               ;   in Loop: Header=BB33_4 Depth=1
	s_add_i32 s19, s19, s28
	s_cmp_ge_u32 s19, s16
	s_cbranch_scc1 .LBB33_25
.LBB33_4:                               ; =>This Loop Header: Depth=1
                                        ;     Child Loop BB33_7 Depth 2
                                        ;       Child Loop BB33_16 Depth 3
	s_and_b64 vcc, exec, s[4:5]
	s_cbranch_vccnz .LBB33_3
; %bb.5:                                ;   in Loop: Header=BB33_4 Depth=1
	v_add_u32_e32 v10, s19, v2
	v_mul_lo_u32 v4, v10, s17
	v_lshlrev_b64 v[8:9], 3, v[4:5]
	v_lshl_add_u64 v[6:7], s[14:15], 0, v[8:9]
	v_lshl_add_u64 v[8:9], s[12:13], 0, v[8:9]
	v_cmp_gt_u32_e32 vcc, s16, v10
	v_cmp_le_u32_e64 s[6:7], s16, v10
	s_mov_b32 s30, 0
	v_mov_b64_e32 v[12:13], s[20:21]
	s_branch .LBB33_7
.LBB33_6:                               ;   in Loop: Header=BB33_7 Depth=2
	s_or_b64 exec, exec, s[24:25]
	ds_read_b64 v[12:13], v19
	s_add_i32 s30, s30, s3
	s_cmp_ge_u32 s30, s17
	s_waitcnt lgkmcnt(0)
	s_barrier
	s_cbranch_scc1 .LBB33_3
.LBB33_7:                               ;   Parent Loop BB33_4 Depth=1
                                        ; =>  This Loop Header: Depth=2
                                        ;       Child Loop BB33_16 Depth 3
	v_add_u32_e32 v4, s30, v1
	v_add_u32_e32 v10, s23, v4
	s_and_saveexec_b64 s[24:25], vcc
	s_cbranch_execz .LBB33_14
; %bb.8:                                ;   in Loop: Header=BB33_7 Depth=2
	v_cmp_gt_u32_e64 s[10:11], s17, v4
	v_mov_b64_e32 v[14:15], s[20:21]
	s_and_saveexec_b64 s[26:27], s[10:11]
	s_cbranch_execz .LBB33_10
; %bb.9:                                ;   in Loop: Header=BB33_7 Depth=2
	v_lshl_add_u64 v[14:15], v[4:5], 3, v[6:7]
	global_load_dwordx2 v[14:15], v[14:15], off
.LBB33_10:                              ;   in Loop: Header=BB33_7 Depth=2
	s_or_b64 exec, exec, s[26:27]
	s_waitcnt vmcnt(0)
	ds_write_b64 v3, v[14:15]
	v_cmp_gt_u32_e64 s[10:11], s17, v10
	v_mov_b64_e32 v[14:15], s[20:21]
	s_and_saveexec_b64 s[26:27], s[10:11]
	s_cbranch_execz .LBB33_12
; %bb.11:                               ;   in Loop: Header=BB33_7 Depth=2
	v_mov_b32_e32 v11, v5
	v_lshl_add_u64 v[14:15], v[10:11], 3, v[6:7]
	global_load_dwordx2 v[14:15], v[14:15], off
.LBB33_12:                              ;   in Loop: Header=BB33_7 Depth=2
	s_or_b64 exec, exec, s[26:27]
	s_waitcnt vmcnt(0)
	ds_write_b64 v17, v[14:15]
	s_and_b64 exec, exec, s[8:9]
	s_cbranch_execz .LBB33_14
; %bb.13:                               ;   in Loop: Header=BB33_7 Depth=2
	ds_read_b64 v[14:15], v16
	s_waitcnt lgkmcnt(0)
	v_mul_lo_u32 v11, v15, v12
	v_mul_lo_u32 v15, v14, v13
	v_mad_u64_u32 v[12:13], s[10:11], v14, v12, 0
	v_add3_u32 v13, v13, v15, v11
	ds_write_b64 v16, v[12:13]
.LBB33_14:                              ;   in Loop: Header=BB33_7 Depth=2
	s_or_b64 exec, exec, s[24:25]
	s_mov_b64 s[24:25], 0
	v_mov_b32_e32 v11, 0
	s_waitcnt lgkmcnt(0)
	s_barrier
	s_branch .LBB33_16
.LBB33_15:                              ;   in Loop: Header=BB33_16 Depth=3
	s_or_b64 exec, exec, s[10:11]
	v_cmp_eq_u32_e64 s[10:11], s29, v11
	s_or_b64 s[24:25], s[10:11], s[24:25]
	s_waitcnt lgkmcnt(0)
	s_barrier
	s_andn2_b64 exec, exec, s[24:25]
	s_cbranch_execz .LBB33_20
.LBB33_16:                              ;   Parent Loop BB33_4 Depth=1
                                        ;     Parent Loop BB33_7 Depth=2
                                        ; =>    This Inner Loop Header: Depth=3
	v_add_u32_e32 v12, 1, v11
	s_and_saveexec_b64 s[10:11], s[6:7]
	s_xor_b64 s[10:11], exec, s[10:11]
; %bb.17:                               ;   in Loop: Header=BB33_16 Depth=3
	v_add_u32_e32 v11, 1, v11
                                        ; implicit-def: $vgpr12
; %bb.18:                               ;   in Loop: Header=BB33_16 Depth=3
	s_andn2_saveexec_b64 s[10:11], s[10:11]
	s_cbranch_execz .LBB33_15
; %bb.19:                               ;   in Loop: Header=BB33_16 Depth=3
	v_lshlrev_b32_e64 v13, v11, 1
	v_lshrrev_b32_e32 v14, v11, v1
	v_bfm_b32 v11, v11, 0
	v_lshl_or_b32 v13, v14, v12, v13
	v_and_b32_e32 v11, v11, v1
	v_lshlrev_b32_e32 v13, 3, v13
	v_lshlrev_b32_e32 v11, 3, v11
	v_add3_u32 v11, v16, v13, v11
	v_add_u32_e32 v13, v18, v13
	ds_read_b64 v[14:15], v11
	ds_read_b64 v[20:21], v13
	s_waitcnt lgkmcnt(0)
	v_mul_lo_u32 v13, v21, v14
	v_mul_lo_u32 v21, v20, v15
	v_mad_u64_u32 v[14:15], s[26:27], v20, v14, 0
	v_add3_u32 v15, v15, v21, v13
	ds_write_b64 v11, v[14:15]
	v_mov_b32_e32 v11, v12
	s_branch .LBB33_15
.LBB33_20:                              ;   in Loop: Header=BB33_7 Depth=2
	s_or_b64 exec, exec, s[24:25]
	s_and_saveexec_b64 s[24:25], vcc
	s_cbranch_execz .LBB33_6
; %bb.21:                               ;   in Loop: Header=BB33_7 Depth=2
	v_cmp_gt_u32_e64 s[10:11], s17, v4
	s_and_saveexec_b64 s[26:27], s[10:11]
	s_cbranch_execz .LBB33_23
; %bb.22:                               ;   in Loop: Header=BB33_7 Depth=2
	ds_read_b64 v[12:13], v3
	v_lshl_add_u64 v[14:15], v[4:5], 3, v[8:9]
	s_waitcnt lgkmcnt(0)
	global_store_dwordx2 v[14:15], v[12:13], off
.LBB33_23:                              ;   in Loop: Header=BB33_7 Depth=2
	s_or_b64 exec, exec, s[26:27]
	v_cmp_gt_u32_e64 s[10:11], s17, v10
	s_and_b64 exec, exec, s[10:11]
	s_cbranch_execz .LBB33_6
; %bb.24:                               ;   in Loop: Header=BB33_7 Depth=2
	ds_read_b64 v[12:13], v17
	v_mov_b32_e32 v11, v5
	v_lshl_add_u64 v[10:11], v[10:11], 3, v[8:9]
	s_waitcnt lgkmcnt(0)
	global_store_dwordx2 v[10:11], v[12:13], off
	s_branch .LBB33_6
.LBB33_25:
	s_mov_b64 s[4:5], 0
.LBB33_26:
	s_andn2_b64 vcc, exec, s[4:5]
	s_cbranch_vccnz .LBB33_53
; %bb.27:
	s_load_dword s3, s[0:1], 0x3c
	s_add_u32 s4, s0, 48
	s_mov_b32 s23, 0
	s_addc_u32 s5, s1, 0
	v_mov_b64_e32 v[4:5], s[22:23]
	s_waitcnt lgkmcnt(0)
	s_lshr_b32 s0, s3, 16
	s_mul_hi_u32 s9, s0, s2
	s_mul_i32 s8, s0, s2
	v_cmp_ge_u64_e32 vcc, s[8:9], v[4:5]
	s_cbranch_vccnz .LBB33_53
; %bb.28:
	s_lshl_b32 s10, 1, s18
	s_load_dword s4, s[4:5], 0x0
	s_and_b32 s6, 0xffff, s0
	s_ashr_i32 s11, s10, 31
	s_cmp_lg_u32 s17, 0
	s_mov_b32 s24, s17
	v_and_b32_e32 v0, 0x3ff, v0
	s_cselect_b64 s[2:3], -1, 0
	s_lshl_b64 s[16:17], s[10:11], 1
	v_mov_b32_e32 v3, 0
	v_lshl_add_u32 v17, v0, 3, v16
	s_lshl_b32 s5, s16, 3
	v_cndmask_b32_e64 v4, 0, 1, s[2:3]
	s_mov_b32 s25, s23
	v_mov_b32_e32 v1, v3
	v_lshl_add_u32 v18, s10, 3, v17
	v_cmp_eq_u32_e64 s[0:1], 0, v0
	v_add3_u32 v19, v16, s5, -8
	s_waitcnt lgkmcnt(0)
	s_mul_i32 s33, s4, s6
	s_add_i32 s34, s18, 1
	v_cmp_ne_u32_e64 s[2:3], 1, v4
	s_branch .LBB33_30
.LBB33_29:                              ;   in Loop: Header=BB33_30 Depth=1
	s_add_u32 s8, s8, s33
	s_addc_u32 s9, s9, 0
	v_mov_b64_e32 v[4:5], s[22:23]
	v_cmp_ge_u64_e32 vcc, s[8:9], v[4:5]
	s_cbranch_vccnz .LBB33_53
.LBB33_30:                              ; =>This Loop Header: Depth=1
                                        ;     Child Loop BB33_33 Depth 2
                                        ;       Child Loop BB33_43 Depth 3
	s_and_b64 vcc, exec, s[2:3]
	s_cbranch_vccnz .LBB33_29
; %bb.31:                               ;   in Loop: Header=BB33_30 Depth=1
	v_lshl_add_u64 v[8:9], s[8:9], 0, v[2:3]
	v_mad_u64_u32 v[4:5], s[4:5], v8, s24, 0
	v_mov_b32_e32 v6, v5
	v_mad_u64_u32 v[6:7], s[4:5], v9, s24, v[6:7]
	v_mov_b32_e32 v5, v6
	v_lshlrev_b64 v[6:7], 3, v[4:5]
	v_lshl_add_u64 v[4:5], s[14:15], 0, v[6:7]
	v_lshl_add_u64 v[6:7], s[12:13], 0, v[6:7]
	v_cmp_gt_u64_e64 s[4:5], s[22:23], v[8:9]
	v_cmp_le_u64_e64 s[6:7], s[22:23], v[8:9]
	s_mov_b64 s[18:19], 0
	v_mov_b64_e32 v[12:13], s[20:21]
	s_branch .LBB33_33
.LBB33_32:                              ;   in Loop: Header=BB33_33 Depth=2
	s_or_b64 exec, exec, s[26:27]
	ds_read_b64 v[12:13], v19
	s_add_u32 s18, s18, s16
	s_addc_u32 s19, s19, s17
	v_mov_b64_e32 v[8:9], s[24:25]
	v_cmp_ge_u64_e32 vcc, s[18:19], v[8:9]
	s_waitcnt lgkmcnt(0)
	s_barrier
	s_cbranch_vccnz .LBB33_29
.LBB33_33:                              ;   Parent Loop BB33_30 Depth=1
                                        ; =>  This Loop Header: Depth=2
                                        ;       Child Loop BB33_43 Depth 3
	v_lshl_add_u64 v[10:11], s[18:19], 0, v[0:1]
	v_lshl_add_u64 v[8:9], v[10:11], 0, s[10:11]
	s_and_saveexec_b64 s[26:27], s[4:5]
	s_cbranch_execz .LBB33_40
; %bb.34:                               ;   in Loop: Header=BB33_33 Depth=2
	v_cmp_gt_u64_e32 vcc, s[24:25], v[10:11]
	v_mov_b64_e32 v[14:15], s[20:21]
	s_and_saveexec_b64 s[28:29], vcc
	s_cbranch_execz .LBB33_36
; %bb.35:                               ;   in Loop: Header=BB33_33 Depth=2
	v_lshl_add_u64 v[14:15], v[10:11], 3, v[4:5]
	global_load_dwordx2 v[14:15], v[14:15], off
.LBB33_36:                              ;   in Loop: Header=BB33_33 Depth=2
	s_or_b64 exec, exec, s[28:29]
	s_waitcnt vmcnt(0)
	ds_write_b64 v17, v[14:15]
	v_cmp_gt_u64_e32 vcc, s[24:25], v[8:9]
	v_mov_b64_e32 v[14:15], s[20:21]
	s_and_saveexec_b64 s[28:29], vcc
	s_cbranch_execz .LBB33_38
; %bb.37:                               ;   in Loop: Header=BB33_33 Depth=2
	v_lshl_add_u64 v[14:15], v[8:9], 3, v[4:5]
	global_load_dwordx2 v[14:15], v[14:15], off
.LBB33_38:                              ;   in Loop: Header=BB33_33 Depth=2
	s_or_b64 exec, exec, s[28:29]
	s_waitcnt vmcnt(0)
	ds_write_b64 v18, v[14:15]
	s_and_b64 exec, exec, s[0:1]
	s_cbranch_execz .LBB33_40
; %bb.39:                               ;   in Loop: Header=BB33_33 Depth=2
	ds_read_b64 v[14:15], v16
	s_waitcnt lgkmcnt(0)
	v_mul_lo_u32 v15, v15, v12
	v_mul_lo_u32 v20, v14, v13
	v_mad_u64_u32 v[12:13], s[28:29], v14, v12, 0
	v_add3_u32 v13, v13, v20, v15
	ds_write_b64 v16, v[12:13]
.LBB33_40:                              ;   in Loop: Header=BB33_33 Depth=2
	s_or_b64 exec, exec, s[26:27]
	s_mov_b64 s[26:27], 0
	v_mov_b32_e32 v21, 0
	s_waitcnt lgkmcnt(0)
	s_barrier
	s_branch .LBB33_43
.LBB33_41:                              ;   in Loop: Header=BB33_43 Depth=3
	s_or_b64 exec, exec, s[30:31]
	v_lshrrev_b32_e32 v13, v21, v0
	v_lshl_or_b32 v12, v13, v20, v12
	v_lshl_add_u32 v12, v12, 3, v16
	v_lshl_add_u32 v21, v14, 3, v12
	v_add_u32_e32 v14, -8, v12
	ds_read_b64 v[12:13], v21
	ds_read_b64 v[14:15], v14
	s_waitcnt lgkmcnt(0)
	v_mul_lo_u32 v15, v15, v12
	v_mul_lo_u32 v22, v14, v13
	v_mad_u64_u32 v[12:13], s[30:31], v14, v12, 0
	v_add3_u32 v13, v13, v22, v15
	ds_write_b64 v21, v[12:13]
.LBB33_42:                              ;   in Loop: Header=BB33_43 Depth=3
	s_or_b64 exec, exec, s[28:29]
	v_cmp_eq_u32_e32 vcc, s34, v20
	s_or_b64 s[26:27], vcc, s[26:27]
	v_mov_b32_e32 v21, v20
	s_waitcnt lgkmcnt(0)
	s_barrier
	s_andn2_b64 exec, exec, s[26:27]
	s_cbranch_execz .LBB33_48
.LBB33_43:                              ;   Parent Loop BB33_30 Depth=1
                                        ;     Parent Loop BB33_33 Depth=2
                                        ; =>    This Inner Loop Header: Depth=3
	v_add_u32_e32 v20, 1, v21
	s_and_saveexec_b64 s[28:29], s[6:7]
	s_xor_b64 s[28:29], exec, s[28:29]
; %bb.44:                               ;   in Loop: Header=BB33_43 Depth=3
	v_add_u32_e32 v20, 1, v21
                                        ; implicit-def: $vgpr21
; %bb.45:                               ;   in Loop: Header=BB33_43 Depth=3
	s_andn2_saveexec_b64 s[28:29], s[28:29]
	s_cbranch_execz .LBB33_42
; %bb.46:                               ;   in Loop: Header=BB33_43 Depth=3
	v_lshlrev_b32_e64 v12, v21, 1
	v_ashrrev_i32_e32 v13, 31, v12
	v_cmp_ge_u64_e32 vcc, v[0:1], v[12:13]
	v_mov_b64_e32 v[14:15], v[0:1]
	s_and_saveexec_b64 s[30:31], vcc
	s_cbranch_execz .LBB33_41
; %bb.47:                               ;   in Loop: Header=BB33_43 Depth=3
	v_cvt_f32_u32_e32 v13, v12
	v_sub_u32_e32 v14, 0, v12
	v_rcp_iflag_f32_e32 v13, v13
	s_nop 0
	v_mul_f32_e32 v13, 0x4f7ffffe, v13
	v_cvt_u32_f32_e32 v13, v13
	v_mul_lo_u32 v14, v14, v13
	v_mul_hi_u32 v14, v13, v14
	v_add_u32_e32 v13, v13, v14
	v_mul_hi_u32 v13, v0, v13
	v_mul_lo_u32 v13, v13, v12
	v_sub_u32_e32 v13, v0, v13
	v_sub_u32_e32 v14, v13, v12
	v_cmp_ge_u32_e32 vcc, v13, v12
	s_nop 1
	v_cndmask_b32_e32 v13, v13, v14, vcc
	v_sub_u32_e32 v14, v13, v12
	v_cmp_ge_u32_e32 vcc, v13, v12
	s_nop 1
	v_cndmask_b32_e32 v14, v13, v14, vcc
	s_branch .LBB33_41
.LBB33_48:                              ;   in Loop: Header=BB33_33 Depth=2
	s_or_b64 exec, exec, s[26:27]
	s_and_saveexec_b64 s[26:27], s[4:5]
	s_cbranch_execz .LBB33_32
; %bb.49:                               ;   in Loop: Header=BB33_33 Depth=2
	v_cmp_gt_u64_e32 vcc, s[24:25], v[10:11]
	s_and_saveexec_b64 s[28:29], vcc
	s_cbranch_execz .LBB33_51
; %bb.50:                               ;   in Loop: Header=BB33_33 Depth=2
	ds_read_b64 v[12:13], v17
	v_lshl_add_u64 v[10:11], v[10:11], 3, v[6:7]
	s_waitcnt lgkmcnt(0)
	global_store_dwordx2 v[10:11], v[12:13], off
.LBB33_51:                              ;   in Loop: Header=BB33_33 Depth=2
	s_or_b64 exec, exec, s[28:29]
	v_cmp_gt_u64_e32 vcc, s[24:25], v[8:9]
	s_and_b64 exec, exec, vcc
	s_cbranch_execz .LBB33_32
; %bb.52:                               ;   in Loop: Header=BB33_33 Depth=2
	ds_read_b64 v[10:11], v18
	v_lshl_add_u64 v[8:9], v[8:9], 3, v[6:7]
	s_waitcnt lgkmcnt(0)
	global_store_dwordx2 v[8:9], v[10:11], off
	s_branch .LBB33_32
.LBB33_53:
	s_endpgm
	.section	.rodata,"a",@progbits
	.p2align	6, 0x0
	.amdhsa_kernel _ZN2at6native32tensor_kernel_scan_innermost_dimIlSt10multipliesIlEEEvPT_PKS4_jjjS4_T0_
		.amdhsa_group_segment_fixed_size 0
		.amdhsa_private_segment_fixed_size 0
		.amdhsa_kernarg_size 304
		.amdhsa_user_sgpr_count 2
		.amdhsa_user_sgpr_dispatch_ptr 0
		.amdhsa_user_sgpr_queue_ptr 0
		.amdhsa_user_sgpr_kernarg_segment_ptr 1
		.amdhsa_user_sgpr_dispatch_id 0
		.amdhsa_user_sgpr_kernarg_preload_length 0
		.amdhsa_user_sgpr_kernarg_preload_offset 0
		.amdhsa_user_sgpr_private_segment_size 0
		.amdhsa_uses_dynamic_stack 0
		.amdhsa_enable_private_segment 0
		.amdhsa_system_sgpr_workgroup_id_x 1
		.amdhsa_system_sgpr_workgroup_id_y 0
		.amdhsa_system_sgpr_workgroup_id_z 0
		.amdhsa_system_sgpr_workgroup_info 0
		.amdhsa_system_vgpr_workitem_id 1
		.amdhsa_next_free_vgpr 23
		.amdhsa_next_free_sgpr 35
		.amdhsa_accum_offset 24
		.amdhsa_reserve_vcc 1
		.amdhsa_float_round_mode_32 0
		.amdhsa_float_round_mode_16_64 0
		.amdhsa_float_denorm_mode_32 3
		.amdhsa_float_denorm_mode_16_64 3
		.amdhsa_dx10_clamp 1
		.amdhsa_ieee_mode 1
		.amdhsa_fp16_overflow 0
		.amdhsa_tg_split 0
		.amdhsa_exception_fp_ieee_invalid_op 0
		.amdhsa_exception_fp_denorm_src 0
		.amdhsa_exception_fp_ieee_div_zero 0
		.amdhsa_exception_fp_ieee_overflow 0
		.amdhsa_exception_fp_ieee_underflow 0
		.amdhsa_exception_fp_ieee_inexact 0
		.amdhsa_exception_int_div_zero 0
	.end_amdhsa_kernel
	.section	.text._ZN2at6native32tensor_kernel_scan_innermost_dimIlSt10multipliesIlEEEvPT_PKS4_jjjS4_T0_,"axG",@progbits,_ZN2at6native32tensor_kernel_scan_innermost_dimIlSt10multipliesIlEEEvPT_PKS4_jjjS4_T0_,comdat
.Lfunc_end33:
	.size	_ZN2at6native32tensor_kernel_scan_innermost_dimIlSt10multipliesIlEEEvPT_PKS4_jjjS4_T0_, .Lfunc_end33-_ZN2at6native32tensor_kernel_scan_innermost_dimIlSt10multipliesIlEEEvPT_PKS4_jjjS4_T0_
                                        ; -- End function
	.section	.AMDGPU.csdata,"",@progbits
; Kernel info:
; codeLenInByte = 1744
; NumSgprs: 41
; NumVgprs: 23
; NumAgprs: 0
; TotalNumVgprs: 23
; ScratchSize: 0
; MemoryBound: 0
; FloatMode: 240
; IeeeMode: 1
; LDSByteSize: 0 bytes/workgroup (compile time only)
; SGPRBlocks: 5
; VGPRBlocks: 2
; NumSGPRsForWavesPerEU: 41
; NumVGPRsForWavesPerEU: 23
; AccumOffset: 24
; Occupancy: 8
; WaveLimiterHint : 0
; COMPUTE_PGM_RSRC2:SCRATCH_EN: 0
; COMPUTE_PGM_RSRC2:USER_SGPR: 2
; COMPUTE_PGM_RSRC2:TRAP_HANDLER: 0
; COMPUTE_PGM_RSRC2:TGID_X_EN: 1
; COMPUTE_PGM_RSRC2:TGID_Y_EN: 0
; COMPUTE_PGM_RSRC2:TGID_Z_EN: 0
; COMPUTE_PGM_RSRC2:TIDIG_COMP_CNT: 1
; COMPUTE_PGM_RSRC3_GFX90A:ACCUM_OFFSET: 5
; COMPUTE_PGM_RSRC3_GFX90A:TG_SPLIT: 0
	.section	.text._ZN2at6native28tensor_kernel_scan_outer_dimIljSt10multipliesIlEEEvPT_PKS4_jjjS4_T1_,"axG",@progbits,_ZN2at6native28tensor_kernel_scan_outer_dimIljSt10multipliesIlEEEvPT_PKS4_jjjS4_T1_,comdat
	.protected	_ZN2at6native28tensor_kernel_scan_outer_dimIljSt10multipliesIlEEEvPT_PKS4_jjjS4_T1_ ; -- Begin function _ZN2at6native28tensor_kernel_scan_outer_dimIljSt10multipliesIlEEEvPT_PKS4_jjjS4_T1_
	.globl	_ZN2at6native28tensor_kernel_scan_outer_dimIljSt10multipliesIlEEEvPT_PKS4_jjjS4_T1_
	.p2align	8
	.type	_ZN2at6native28tensor_kernel_scan_outer_dimIljSt10multipliesIlEEEvPT_PKS4_jjjS4_T1_,@function
_ZN2at6native28tensor_kernel_scan_outer_dimIljSt10multipliesIlEEEvPT_PKS4_jjjS4_T1_: ; @_ZN2at6native28tensor_kernel_scan_outer_dimIljSt10multipliesIlEEEvPT_PKS4_jjjS4_T1_
; %bb.0:
	s_load_dwordx4 s[8:11], s[0:1], 0x10
	s_waitcnt lgkmcnt(0)
	s_cmp_ge_u32 s2, s8
	s_cbranch_scc1 .LBB34_9
; %bb.1:
	s_load_dword s11, s[0:1], 0x30
	s_load_dword s4, s[0:1], 0x3c
	s_load_dwordx4 s[12:15], s[0:1], 0x0
	s_load_dwordx2 s[6:7], s[0:1], 0x20
	s_add_u32 s16, s0, 48
	s_addc_u32 s17, s1, 0
	s_waitcnt lgkmcnt(0)
	s_and_b32 s28, s4, 0xffff
	s_mul_i32 s3, s3, s28
	s_cmp_lg_u32 s10, 0
	v_add_u32_e32 v6, s3, v0
	s_mul_i32 s3, s2, s10
	s_cselect_b64 s[4:5], -1, 0
	s_mov_b32 s19, 0
	s_mov_b32 s18, s9
	s_mul_i32 s22, s3, s9
	s_mul_i32 s3, s11, s10
	v_cndmask_b32_e64 v0, 0, 1, s[4:5]
	v_cmp_gt_u32_e64 s[0:1], s9, v6
	s_mul_i32 s3, s3, s9
	s_lshl_b64 s[20:21], s[18:19], 3
	v_cmp_ne_u32_e64 s[4:5], 1, v0
	v_mov_b32_e32 v1, 0
	s_mov_b32 s18, s22
	s_branch .LBB34_3
.LBB34_2:                               ;   in Loop: Header=BB34_3 Depth=1
	s_or_b64 exec, exec, s[22:23]
	s_add_i32 s2, s11, s2
	s_add_i32 s18, s18, s3
	s_cmp_ge_u32 s2, s8
	s_cbranch_scc1 .LBB34_9
.LBB34_3:                               ; =>This Loop Header: Depth=1
                                        ;     Child Loop BB34_6 Depth 2
                                        ;       Child Loop BB34_8 Depth 3
	s_and_saveexec_b64 s[22:23], s[0:1]
	s_cbranch_execz .LBB34_2
; %bb.4:                                ;   in Loop: Header=BB34_3 Depth=1
	s_load_dword s29, s[16:17], 0x4
	s_lshl_b64 s[24:25], s[18:19], 3
	s_mov_b64 s[26:27], 0
	v_mov_b32_e32 v0, v6
	s_waitcnt lgkmcnt(0)
	s_mul_i32 s29, s29, s28
	s_branch .LBB34_6
.LBB34_5:                               ;   in Loop: Header=BB34_6 Depth=2
	v_add_u32_e32 v0, s29, v0
	v_cmp_le_u32_e32 vcc, s9, v0
	s_or_b64 s[26:27], vcc, s[26:27]
	s_andn2_b64 exec, exec, s[26:27]
	s_cbranch_execz .LBB34_2
.LBB34_6:                               ;   Parent Loop BB34_3 Depth=1
                                        ; =>  This Loop Header: Depth=2
                                        ;       Child Loop BB34_8 Depth 3
	s_and_b64 vcc, exec, s[4:5]
	s_cbranch_vccnz .LBB34_5
; %bb.7:                                ;   in Loop: Header=BB34_6 Depth=2
	v_lshl_add_u64 v[2:3], v[0:1], 3, s[24:25]
	v_mov_b64_e32 v[4:5], s[6:7]
	s_mov_b32 s30, s10
.LBB34_8:                               ;   Parent Loop BB34_3 Depth=1
                                        ;     Parent Loop BB34_6 Depth=2
                                        ; =>    This Inner Loop Header: Depth=3
	v_lshl_add_u64 v[8:9], s[14:15], 0, v[2:3]
	global_load_dwordx2 v[8:9], v[8:9], off
	s_add_i32 s30, s30, -1
	v_lshl_add_u64 v[10:11], s[12:13], 0, v[2:3]
	v_lshl_add_u64 v[2:3], v[2:3], 0, s[20:21]
	s_cmp_eq_u32 s30, 0
	s_waitcnt vmcnt(0)
	v_mul_lo_u32 v7, v9, v4
	v_mul_lo_u32 v9, v8, v5
	v_mad_u64_u32 v[4:5], s[34:35], v8, v4, 0
	v_add3_u32 v5, v5, v9, v7
	global_store_dwordx2 v[10:11], v[4:5], off
	s_cbranch_scc0 .LBB34_8
	s_branch .LBB34_5
.LBB34_9:
	s_endpgm
	.section	.rodata,"a",@progbits
	.p2align	6, 0x0
	.amdhsa_kernel _ZN2at6native28tensor_kernel_scan_outer_dimIljSt10multipliesIlEEEvPT_PKS4_jjjS4_T1_
		.amdhsa_group_segment_fixed_size 0
		.amdhsa_private_segment_fixed_size 0
		.amdhsa_kernarg_size 304
		.amdhsa_user_sgpr_count 2
		.amdhsa_user_sgpr_dispatch_ptr 0
		.amdhsa_user_sgpr_queue_ptr 0
		.amdhsa_user_sgpr_kernarg_segment_ptr 1
		.amdhsa_user_sgpr_dispatch_id 0
		.amdhsa_user_sgpr_kernarg_preload_length 0
		.amdhsa_user_sgpr_kernarg_preload_offset 0
		.amdhsa_user_sgpr_private_segment_size 0
		.amdhsa_uses_dynamic_stack 0
		.amdhsa_enable_private_segment 0
		.amdhsa_system_sgpr_workgroup_id_x 1
		.amdhsa_system_sgpr_workgroup_id_y 1
		.amdhsa_system_sgpr_workgroup_id_z 0
		.amdhsa_system_sgpr_workgroup_info 0
		.amdhsa_system_vgpr_workitem_id 0
		.amdhsa_next_free_vgpr 12
		.amdhsa_next_free_sgpr 36
		.amdhsa_accum_offset 12
		.amdhsa_reserve_vcc 1
		.amdhsa_float_round_mode_32 0
		.amdhsa_float_round_mode_16_64 0
		.amdhsa_float_denorm_mode_32 3
		.amdhsa_float_denorm_mode_16_64 3
		.amdhsa_dx10_clamp 1
		.amdhsa_ieee_mode 1
		.amdhsa_fp16_overflow 0
		.amdhsa_tg_split 0
		.amdhsa_exception_fp_ieee_invalid_op 0
		.amdhsa_exception_fp_denorm_src 0
		.amdhsa_exception_fp_ieee_div_zero 0
		.amdhsa_exception_fp_ieee_overflow 0
		.amdhsa_exception_fp_ieee_underflow 0
		.amdhsa_exception_fp_ieee_inexact 0
		.amdhsa_exception_int_div_zero 0
	.end_amdhsa_kernel
	.section	.text._ZN2at6native28tensor_kernel_scan_outer_dimIljSt10multipliesIlEEEvPT_PKS4_jjjS4_T1_,"axG",@progbits,_ZN2at6native28tensor_kernel_scan_outer_dimIljSt10multipliesIlEEEvPT_PKS4_jjjS4_T1_,comdat
.Lfunc_end34:
	.size	_ZN2at6native28tensor_kernel_scan_outer_dimIljSt10multipliesIlEEEvPT_PKS4_jjjS4_T1_, .Lfunc_end34-_ZN2at6native28tensor_kernel_scan_outer_dimIljSt10multipliesIlEEEvPT_PKS4_jjjS4_T1_
                                        ; -- End function
	.section	.AMDGPU.csdata,"",@progbits
; Kernel info:
; codeLenInByte = 352
; NumSgprs: 42
; NumVgprs: 12
; NumAgprs: 0
; TotalNumVgprs: 12
; ScratchSize: 0
; MemoryBound: 0
; FloatMode: 240
; IeeeMode: 1
; LDSByteSize: 0 bytes/workgroup (compile time only)
; SGPRBlocks: 5
; VGPRBlocks: 1
; NumSGPRsForWavesPerEU: 42
; NumVGPRsForWavesPerEU: 12
; AccumOffset: 12
; Occupancy: 8
; WaveLimiterHint : 0
; COMPUTE_PGM_RSRC2:SCRATCH_EN: 0
; COMPUTE_PGM_RSRC2:USER_SGPR: 2
; COMPUTE_PGM_RSRC2:TRAP_HANDLER: 0
; COMPUTE_PGM_RSRC2:TGID_X_EN: 1
; COMPUTE_PGM_RSRC2:TGID_Y_EN: 1
; COMPUTE_PGM_RSRC2:TGID_Z_EN: 0
; COMPUTE_PGM_RSRC2:TIDIG_COMP_CNT: 0
; COMPUTE_PGM_RSRC3_GFX90A:ACCUM_OFFSET: 2
; COMPUTE_PGM_RSRC3_GFX90A:TG_SPLIT: 0
	.section	.text._ZN2at6native28tensor_kernel_scan_outer_dimIlmSt10multipliesIlEEEvPT_PKS4_jjjS4_T1_,"axG",@progbits,_ZN2at6native28tensor_kernel_scan_outer_dimIlmSt10multipliesIlEEEvPT_PKS4_jjjS4_T1_,comdat
	.protected	_ZN2at6native28tensor_kernel_scan_outer_dimIlmSt10multipliesIlEEEvPT_PKS4_jjjS4_T1_ ; -- Begin function _ZN2at6native28tensor_kernel_scan_outer_dimIlmSt10multipliesIlEEEvPT_PKS4_jjjS4_T1_
	.globl	_ZN2at6native28tensor_kernel_scan_outer_dimIlmSt10multipliesIlEEEvPT_PKS4_jjjS4_T1_
	.p2align	8
	.type	_ZN2at6native28tensor_kernel_scan_outer_dimIlmSt10multipliesIlEEEvPT_PKS4_jjjS4_T1_,@function
_ZN2at6native28tensor_kernel_scan_outer_dimIlmSt10multipliesIlEEEvPT_PKS4_jjjS4_T1_: ; @_ZN2at6native28tensor_kernel_scan_outer_dimIlmSt10multipliesIlEEEvPT_PKS4_jjjS4_T1_
; %bb.0:
	s_load_dwordx4 s[8:11], s[0:1], 0x10
	s_waitcnt lgkmcnt(0)
	s_cmp_ge_u32 s2, s8
	s_cbranch_scc1 .LBB35_9
; %bb.1:
	s_load_dword s11, s[0:1], 0x30
	s_load_dword s4, s[0:1], 0x3c
	s_load_dwordx4 s[12:15], s[0:1], 0x0
	s_load_dwordx2 s[6:7], s[0:1], 0x20
	s_add_u32 s16, s0, 48
	s_addc_u32 s17, s1, 0
	s_waitcnt lgkmcnt(0)
	s_and_b32 s28, s4, 0xffff
	s_cmp_lg_u32 s10, 0
	s_mul_i32 s3, s3, s28
	s_cselect_b64 s[22:23], -1, 0
	v_add_u32_e32 v6, s3, v0
	s_mov_b32 s5, 0
	s_mov_b32 s4, s9
	s_mul_hi_u32 s19, s10, s9
	s_mul_i32 s18, s10, s9
	v_cndmask_b32_e64 v0, 0, 1, s[22:23]
	v_cmp_gt_u32_e64 s[0:1], s9, v6
	s_lshl_b64 s[18:19], s[18:19], 3
	s_lshl_b64 s[20:21], s[4:5], 3
	v_cmp_ne_u32_e64 s[4:5], 1, v0
	v_mov_b32_e32 v1, 0
	s_branch .LBB35_3
.LBB35_2:                               ;   in Loop: Header=BB35_3 Depth=1
	s_or_b64 exec, exec, s[22:23]
	s_add_i32 s2, s2, s11
	s_cmp_ge_u32 s2, s8
	s_cbranch_scc1 .LBB35_9
.LBB35_3:                               ; =>This Loop Header: Depth=1
                                        ;     Child Loop BB35_6 Depth 2
                                        ;       Child Loop BB35_8 Depth 3
	s_and_saveexec_b64 s[22:23], s[0:1]
	s_cbranch_execz .LBB35_2
; %bb.4:                                ;   in Loop: Header=BB35_3 Depth=1
	s_load_dword s3, s[16:17], 0x4
	s_mul_i32 s25, s19, s2
	s_mul_hi_u32 s26, s18, s2
	s_mul_i32 s24, s18, s2
	s_add_i32 s25, s26, s25
	s_waitcnt lgkmcnt(0)
	s_mul_i32 s3, s3, s28
	s_mov_b64 s[26:27], 0
	v_mov_b32_e32 v0, v6
	s_branch .LBB35_6
.LBB35_5:                               ;   in Loop: Header=BB35_6 Depth=2
	v_add_u32_e32 v0, s3, v0
	v_cmp_le_u32_e32 vcc, s9, v0
	s_or_b64 s[26:27], vcc, s[26:27]
	s_andn2_b64 exec, exec, s[26:27]
	s_cbranch_execz .LBB35_2
.LBB35_6:                               ;   Parent Loop BB35_3 Depth=1
                                        ; =>  This Loop Header: Depth=2
                                        ;       Child Loop BB35_8 Depth 3
	s_and_b64 vcc, exec, s[4:5]
	s_cbranch_vccnz .LBB35_5
; %bb.7:                                ;   in Loop: Header=BB35_6 Depth=2
	v_lshl_add_u64 v[2:3], v[0:1], 3, s[24:25]
	v_mov_b64_e32 v[4:5], s[6:7]
	s_mov_b32 s29, s10
.LBB35_8:                               ;   Parent Loop BB35_3 Depth=1
                                        ;     Parent Loop BB35_6 Depth=2
                                        ; =>    This Inner Loop Header: Depth=3
	v_lshl_add_u64 v[8:9], s[14:15], 0, v[2:3]
	global_load_dwordx2 v[8:9], v[8:9], off
	s_add_i32 s29, s29, -1
	v_lshl_add_u64 v[10:11], s[12:13], 0, v[2:3]
	v_lshl_add_u64 v[2:3], v[2:3], 0, s[20:21]
	s_cmp_eq_u32 s29, 0
	s_waitcnt vmcnt(0)
	v_mul_lo_u32 v7, v9, v4
	v_mul_lo_u32 v9, v8, v5
	v_mad_u64_u32 v[4:5], s[30:31], v8, v4, 0
	v_add3_u32 v5, v5, v9, v7
	global_store_dwordx2 v[10:11], v[4:5], off
	s_cbranch_scc0 .LBB35_8
	s_branch .LBB35_5
.LBB35_9:
	s_endpgm
	.section	.rodata,"a",@progbits
	.p2align	6, 0x0
	.amdhsa_kernel _ZN2at6native28tensor_kernel_scan_outer_dimIlmSt10multipliesIlEEEvPT_PKS4_jjjS4_T1_
		.amdhsa_group_segment_fixed_size 0
		.amdhsa_private_segment_fixed_size 0
		.amdhsa_kernarg_size 304
		.amdhsa_user_sgpr_count 2
		.amdhsa_user_sgpr_dispatch_ptr 0
		.amdhsa_user_sgpr_queue_ptr 0
		.amdhsa_user_sgpr_kernarg_segment_ptr 1
		.amdhsa_user_sgpr_dispatch_id 0
		.amdhsa_user_sgpr_kernarg_preload_length 0
		.amdhsa_user_sgpr_kernarg_preload_offset 0
		.amdhsa_user_sgpr_private_segment_size 0
		.amdhsa_uses_dynamic_stack 0
		.amdhsa_enable_private_segment 0
		.amdhsa_system_sgpr_workgroup_id_x 1
		.amdhsa_system_sgpr_workgroup_id_y 1
		.amdhsa_system_sgpr_workgroup_id_z 0
		.amdhsa_system_sgpr_workgroup_info 0
		.amdhsa_system_vgpr_workitem_id 0
		.amdhsa_next_free_vgpr 12
		.amdhsa_next_free_sgpr 32
		.amdhsa_accum_offset 12
		.amdhsa_reserve_vcc 1
		.amdhsa_float_round_mode_32 0
		.amdhsa_float_round_mode_16_64 0
		.amdhsa_float_denorm_mode_32 3
		.amdhsa_float_denorm_mode_16_64 3
		.amdhsa_dx10_clamp 1
		.amdhsa_ieee_mode 1
		.amdhsa_fp16_overflow 0
		.amdhsa_tg_split 0
		.amdhsa_exception_fp_ieee_invalid_op 0
		.amdhsa_exception_fp_denorm_src 0
		.amdhsa_exception_fp_ieee_div_zero 0
		.amdhsa_exception_fp_ieee_overflow 0
		.amdhsa_exception_fp_ieee_underflow 0
		.amdhsa_exception_fp_ieee_inexact 0
		.amdhsa_exception_int_div_zero 0
	.end_amdhsa_kernel
	.section	.text._ZN2at6native28tensor_kernel_scan_outer_dimIlmSt10multipliesIlEEEvPT_PKS4_jjjS4_T1_,"axG",@progbits,_ZN2at6native28tensor_kernel_scan_outer_dimIlmSt10multipliesIlEEEvPT_PKS4_jjjS4_T1_,comdat
.Lfunc_end35:
	.size	_ZN2at6native28tensor_kernel_scan_outer_dimIlmSt10multipliesIlEEEvPT_PKS4_jjjS4_T1_, .Lfunc_end35-_ZN2at6native28tensor_kernel_scan_outer_dimIlmSt10multipliesIlEEEvPT_PKS4_jjjS4_T1_
                                        ; -- End function
	.section	.AMDGPU.csdata,"",@progbits
; Kernel info:
; codeLenInByte = 352
; NumSgprs: 38
; NumVgprs: 12
; NumAgprs: 0
; TotalNumVgprs: 12
; ScratchSize: 0
; MemoryBound: 0
; FloatMode: 240
; IeeeMode: 1
; LDSByteSize: 0 bytes/workgroup (compile time only)
; SGPRBlocks: 4
; VGPRBlocks: 1
; NumSGPRsForWavesPerEU: 38
; NumVGPRsForWavesPerEU: 12
; AccumOffset: 12
; Occupancy: 8
; WaveLimiterHint : 0
; COMPUTE_PGM_RSRC2:SCRATCH_EN: 0
; COMPUTE_PGM_RSRC2:USER_SGPR: 2
; COMPUTE_PGM_RSRC2:TRAP_HANDLER: 0
; COMPUTE_PGM_RSRC2:TGID_X_EN: 1
; COMPUTE_PGM_RSRC2:TGID_Y_EN: 1
; COMPUTE_PGM_RSRC2:TGID_Z_EN: 0
; COMPUTE_PGM_RSRC2:TIDIG_COMP_CNT: 0
; COMPUTE_PGM_RSRC3_GFX90A:ACCUM_OFFSET: 2
; COMPUTE_PGM_RSRC3_GFX90A:TG_SPLIT: 0
	.section	.text._ZN7rocprim17ROCPRIM_304000_NS6detail31init_lookback_scan_state_kernelINS1_19lookback_scan_stateIsLb1ELb1EEEEEvT_jjPNS5_10value_typeE,"axG",@progbits,_ZN7rocprim17ROCPRIM_304000_NS6detail31init_lookback_scan_state_kernelINS1_19lookback_scan_stateIsLb1ELb1EEEEEvT_jjPNS5_10value_typeE,comdat
	.protected	_ZN7rocprim17ROCPRIM_304000_NS6detail31init_lookback_scan_state_kernelINS1_19lookback_scan_stateIsLb1ELb1EEEEEvT_jjPNS5_10value_typeE ; -- Begin function _ZN7rocprim17ROCPRIM_304000_NS6detail31init_lookback_scan_state_kernelINS1_19lookback_scan_stateIsLb1ELb1EEEEEvT_jjPNS5_10value_typeE
	.globl	_ZN7rocprim17ROCPRIM_304000_NS6detail31init_lookback_scan_state_kernelINS1_19lookback_scan_stateIsLb1ELb1EEEEEvT_jjPNS5_10value_typeE
	.p2align	8
	.type	_ZN7rocprim17ROCPRIM_304000_NS6detail31init_lookback_scan_state_kernelINS1_19lookback_scan_stateIsLb1ELb1EEEEEvT_jjPNS5_10value_typeE,@function
_ZN7rocprim17ROCPRIM_304000_NS6detail31init_lookback_scan_state_kernelINS1_19lookback_scan_stateIsLb1ELb1EEEEEvT_jjPNS5_10value_typeE: ; @_ZN7rocprim17ROCPRIM_304000_NS6detail31init_lookback_scan_state_kernelINS1_19lookback_scan_stateIsLb1ELb1EEEEEvT_jjPNS5_10value_typeE
; %bb.0:
	s_load_dword s3, s[0:1], 0x24
	s_load_dwordx2 s[8:9], s[0:1], 0x10
	s_load_dwordx4 s[4:7], s[0:1], 0x0
	s_waitcnt lgkmcnt(0)
	s_and_b32 s0, s3, 0xffff
	s_mul_i32 s2, s2, s0
	s_cmp_eq_u64 s[8:9], 0
	v_add_u32_e32 v0, s2, v0
	s_cbranch_scc1 .LBB36_9
; %bb.1:
	s_cmp_lt_u32 s7, s6
	s_cselect_b32 s0, s7, 0
	s_mov_b32 s3, 0
	v_cmp_eq_u32_e32 vcc, s0, v0
	s_and_saveexec_b64 s[0:1], vcc
	s_cbranch_execz .LBB36_8
; %bb.2:
	s_add_i32 s2, s7, 64
	s_lshl_b64 s[2:3], s[2:3], 2
	s_add_u32 s2, s4, s2
	s_addc_u32 s3, s5, s3
	v_mov_b32_e32 v1, 0
	global_load_dword v2, v1, s[2:3] sc1
	s_waitcnt vmcnt(0)
	v_and_b32_e32 v3, 0xff0000, v2
	v_cmp_ne_u32_e32 vcc, 0, v3
	s_cbranch_vccnz .LBB36_7
; %bb.3:
	s_mov_b32 s7, 1
.LBB36_4:                               ; =>This Loop Header: Depth=1
                                        ;     Child Loop BB36_5 Depth 2
	s_max_u32 s10, s7, 1
.LBB36_5:                               ;   Parent Loop BB36_4 Depth=1
                                        ; =>  This Inner Loop Header: Depth=2
	s_add_i32 s10, s10, -1
	s_cmp_eq_u32 s10, 0
	s_sleep 1
	s_cbranch_scc0 .LBB36_5
; %bb.6:                                ;   in Loop: Header=BB36_4 Depth=1
	global_load_dword v2, v1, s[2:3] sc1
	s_cmp_lt_u32 s7, 32
	s_cselect_b64 s[10:11], -1, 0
	s_cmp_lg_u64 s[10:11], 0
	s_addc_u32 s7, s7, 0
	s_waitcnt vmcnt(0)
	v_and_b32_e32 v3, 0xff0000, v2
	v_cmp_ne_u32_e32 vcc, 0, v3
	s_cbranch_vccz .LBB36_4
.LBB36_7:
	v_mov_b32_e32 v1, 0
	global_store_short v1, v2, s[8:9]
.LBB36_8:
	s_or_b64 exec, exec, s[0:1]
.LBB36_9:
	v_cmp_gt_u32_e32 vcc, s6, v0
	s_and_saveexec_b64 s[0:1], vcc
	s_cbranch_execnz .LBB36_12
; %bb.10:
	s_or_b64 exec, exec, s[0:1]
	v_cmp_gt_u32_e32 vcc, 64, v0
	s_and_saveexec_b64 s[0:1], vcc
	s_cbranch_execnz .LBB36_13
.LBB36_11:
	s_endpgm
.LBB36_12:
	v_add_u32_e32 v2, 64, v0
	v_mov_b32_e32 v3, 0
	v_lshl_add_u64 v[4:5], v[2:3], 2, s[4:5]
	global_store_dword v[4:5], v3, off
	s_or_b64 exec, exec, s[0:1]
	v_cmp_gt_u32_e32 vcc, 64, v0
	s_and_saveexec_b64 s[0:1], vcc
	s_cbranch_execz .LBB36_11
.LBB36_13:
	v_mov_b32_e32 v1, 0
	v_lshl_add_u64 v[0:1], v[0:1], 2, s[4:5]
	v_mov_b32_e32 v2, 0xff0000
	global_store_dword v[0:1], v2, off
	s_endpgm
	.section	.rodata,"a",@progbits
	.p2align	6, 0x0
	.amdhsa_kernel _ZN7rocprim17ROCPRIM_304000_NS6detail31init_lookback_scan_state_kernelINS1_19lookback_scan_stateIsLb1ELb1EEEEEvT_jjPNS5_10value_typeE
		.amdhsa_group_segment_fixed_size 0
		.amdhsa_private_segment_fixed_size 0
		.amdhsa_kernarg_size 280
		.amdhsa_user_sgpr_count 2
		.amdhsa_user_sgpr_dispatch_ptr 0
		.amdhsa_user_sgpr_queue_ptr 0
		.amdhsa_user_sgpr_kernarg_segment_ptr 1
		.amdhsa_user_sgpr_dispatch_id 0
		.amdhsa_user_sgpr_kernarg_preload_length 0
		.amdhsa_user_sgpr_kernarg_preload_offset 0
		.amdhsa_user_sgpr_private_segment_size 0
		.amdhsa_uses_dynamic_stack 0
		.amdhsa_enable_private_segment 0
		.amdhsa_system_sgpr_workgroup_id_x 1
		.amdhsa_system_sgpr_workgroup_id_y 0
		.amdhsa_system_sgpr_workgroup_id_z 0
		.amdhsa_system_sgpr_workgroup_info 0
		.amdhsa_system_vgpr_workitem_id 0
		.amdhsa_next_free_vgpr 6
		.amdhsa_next_free_sgpr 12
		.amdhsa_accum_offset 8
		.amdhsa_reserve_vcc 1
		.amdhsa_float_round_mode_32 0
		.amdhsa_float_round_mode_16_64 0
		.amdhsa_float_denorm_mode_32 3
		.amdhsa_float_denorm_mode_16_64 3
		.amdhsa_dx10_clamp 1
		.amdhsa_ieee_mode 1
		.amdhsa_fp16_overflow 0
		.amdhsa_tg_split 0
		.amdhsa_exception_fp_ieee_invalid_op 0
		.amdhsa_exception_fp_denorm_src 0
		.amdhsa_exception_fp_ieee_div_zero 0
		.amdhsa_exception_fp_ieee_overflow 0
		.amdhsa_exception_fp_ieee_underflow 0
		.amdhsa_exception_fp_ieee_inexact 0
		.amdhsa_exception_int_div_zero 0
	.end_amdhsa_kernel
	.section	.text._ZN7rocprim17ROCPRIM_304000_NS6detail31init_lookback_scan_state_kernelINS1_19lookback_scan_stateIsLb1ELb1EEEEEvT_jjPNS5_10value_typeE,"axG",@progbits,_ZN7rocprim17ROCPRIM_304000_NS6detail31init_lookback_scan_state_kernelINS1_19lookback_scan_stateIsLb1ELb1EEEEEvT_jjPNS5_10value_typeE,comdat
.Lfunc_end36:
	.size	_ZN7rocprim17ROCPRIM_304000_NS6detail31init_lookback_scan_state_kernelINS1_19lookback_scan_stateIsLb1ELb1EEEEEvT_jjPNS5_10value_typeE, .Lfunc_end36-_ZN7rocprim17ROCPRIM_304000_NS6detail31init_lookback_scan_state_kernelINS1_19lookback_scan_stateIsLb1ELb1EEEEEvT_jjPNS5_10value_typeE
                                        ; -- End function
	.section	.AMDGPU.csdata,"",@progbits
; Kernel info:
; codeLenInByte = 312
; NumSgprs: 18
; NumVgprs: 6
; NumAgprs: 0
; TotalNumVgprs: 6
; ScratchSize: 0
; MemoryBound: 0
; FloatMode: 240
; IeeeMode: 1
; LDSByteSize: 0 bytes/workgroup (compile time only)
; SGPRBlocks: 2
; VGPRBlocks: 0
; NumSGPRsForWavesPerEU: 18
; NumVGPRsForWavesPerEU: 6
; AccumOffset: 8
; Occupancy: 8
; WaveLimiterHint : 0
; COMPUTE_PGM_RSRC2:SCRATCH_EN: 0
; COMPUTE_PGM_RSRC2:USER_SGPR: 2
; COMPUTE_PGM_RSRC2:TRAP_HANDLER: 0
; COMPUTE_PGM_RSRC2:TGID_X_EN: 1
; COMPUTE_PGM_RSRC2:TGID_Y_EN: 0
; COMPUTE_PGM_RSRC2:TGID_Z_EN: 0
; COMPUTE_PGM_RSRC2:TIDIG_COMP_CNT: 0
; COMPUTE_PGM_RSRC3_GFX90A:ACCUM_OFFSET: 1
; COMPUTE_PGM_RSRC3_GFX90A:TG_SPLIT: 0
	.section	.text._ZN7rocprim17ROCPRIM_304000_NS6detail31init_lookback_scan_state_kernelINS1_19lookback_scan_stateIsLb0ELb1EEEEEvT_jjPNS5_10value_typeE,"axG",@progbits,_ZN7rocprim17ROCPRIM_304000_NS6detail31init_lookback_scan_state_kernelINS1_19lookback_scan_stateIsLb0ELb1EEEEEvT_jjPNS5_10value_typeE,comdat
	.protected	_ZN7rocprim17ROCPRIM_304000_NS6detail31init_lookback_scan_state_kernelINS1_19lookback_scan_stateIsLb0ELb1EEEEEvT_jjPNS5_10value_typeE ; -- Begin function _ZN7rocprim17ROCPRIM_304000_NS6detail31init_lookback_scan_state_kernelINS1_19lookback_scan_stateIsLb0ELb1EEEEEvT_jjPNS5_10value_typeE
	.globl	_ZN7rocprim17ROCPRIM_304000_NS6detail31init_lookback_scan_state_kernelINS1_19lookback_scan_stateIsLb0ELb1EEEEEvT_jjPNS5_10value_typeE
	.p2align	8
	.type	_ZN7rocprim17ROCPRIM_304000_NS6detail31init_lookback_scan_state_kernelINS1_19lookback_scan_stateIsLb0ELb1EEEEEvT_jjPNS5_10value_typeE,@function
_ZN7rocprim17ROCPRIM_304000_NS6detail31init_lookback_scan_state_kernelINS1_19lookback_scan_stateIsLb0ELb1EEEEEvT_jjPNS5_10value_typeE: ; @_ZN7rocprim17ROCPRIM_304000_NS6detail31init_lookback_scan_state_kernelINS1_19lookback_scan_stateIsLb0ELb1EEEEEvT_jjPNS5_10value_typeE
; %bb.0:
	s_load_dword s3, s[0:1], 0x24
	s_load_dwordx2 s[8:9], s[0:1], 0x10
	s_load_dwordx4 s[4:7], s[0:1], 0x0
	s_waitcnt lgkmcnt(0)
	s_and_b32 s0, s3, 0xffff
	s_mul_i32 s2, s2, s0
	s_cmp_eq_u64 s[8:9], 0
	v_add_u32_e32 v0, s2, v0
	s_cbranch_scc1 .LBB37_6
; %bb.1:
	s_cmp_lt_u32 s7, s6
	s_cselect_b32 s0, s7, 0
	s_mov_b32 s3, 0
	v_cmp_eq_u32_e32 vcc, s0, v0
	s_and_saveexec_b64 s[0:1], vcc
	s_cbranch_execz .LBB37_5
; %bb.2:
	s_add_i32 s2, s7, 64
	s_lshl_b64 s[2:3], s[2:3], 2
	s_add_u32 s2, s4, s2
	s_addc_u32 s3, s5, s3
	v_mov_b32_e32 v2, 0
	global_load_dword v1, v2, s[2:3] sc1
	s_waitcnt vmcnt(0)
	v_and_b32_e32 v3, 0xff0000, v1
	v_cmp_ne_u32_e32 vcc, 0, v3
	s_cbranch_vccnz .LBB37_4
.LBB37_3:                               ; =>This Inner Loop Header: Depth=1
	global_load_dword v1, v2, s[2:3] sc1
	s_waitcnt vmcnt(0)
	v_and_b32_e32 v3, 0xff0000, v1
	v_cmp_eq_u32_e32 vcc, 0, v3
	s_cbranch_vccnz .LBB37_3
.LBB37_4:
	v_mov_b32_e32 v2, 0
	global_store_short v2, v1, s[8:9]
.LBB37_5:
	s_or_b64 exec, exec, s[0:1]
.LBB37_6:
	v_cmp_gt_u32_e32 vcc, s6, v0
	s_and_saveexec_b64 s[0:1], vcc
	s_cbranch_execnz .LBB37_9
; %bb.7:
	s_or_b64 exec, exec, s[0:1]
	v_cmp_gt_u32_e32 vcc, 64, v0
	s_and_saveexec_b64 s[0:1], vcc
	s_cbranch_execnz .LBB37_10
.LBB37_8:
	s_endpgm
.LBB37_9:
	v_add_u32_e32 v2, 64, v0
	v_mov_b32_e32 v3, 0
	v_lshl_add_u64 v[4:5], v[2:3], 2, s[4:5]
	global_store_dword v[4:5], v3, off
	s_or_b64 exec, exec, s[0:1]
	v_cmp_gt_u32_e32 vcc, 64, v0
	s_and_saveexec_b64 s[0:1], vcc
	s_cbranch_execz .LBB37_8
.LBB37_10:
	v_mov_b32_e32 v1, 0
	v_lshl_add_u64 v[0:1], v[0:1], 2, s[4:5]
	v_mov_b32_e32 v2, 0xff0000
	global_store_dword v[0:1], v2, off
	s_endpgm
	.section	.rodata,"a",@progbits
	.p2align	6, 0x0
	.amdhsa_kernel _ZN7rocprim17ROCPRIM_304000_NS6detail31init_lookback_scan_state_kernelINS1_19lookback_scan_stateIsLb0ELb1EEEEEvT_jjPNS5_10value_typeE
		.amdhsa_group_segment_fixed_size 0
		.amdhsa_private_segment_fixed_size 0
		.amdhsa_kernarg_size 280
		.amdhsa_user_sgpr_count 2
		.amdhsa_user_sgpr_dispatch_ptr 0
		.amdhsa_user_sgpr_queue_ptr 0
		.amdhsa_user_sgpr_kernarg_segment_ptr 1
		.amdhsa_user_sgpr_dispatch_id 0
		.amdhsa_user_sgpr_kernarg_preload_length 0
		.amdhsa_user_sgpr_kernarg_preload_offset 0
		.amdhsa_user_sgpr_private_segment_size 0
		.amdhsa_uses_dynamic_stack 0
		.amdhsa_enable_private_segment 0
		.amdhsa_system_sgpr_workgroup_id_x 1
		.amdhsa_system_sgpr_workgroup_id_y 0
		.amdhsa_system_sgpr_workgroup_id_z 0
		.amdhsa_system_sgpr_workgroup_info 0
		.amdhsa_system_vgpr_workitem_id 0
		.amdhsa_next_free_vgpr 6
		.amdhsa_next_free_sgpr 10
		.amdhsa_accum_offset 8
		.amdhsa_reserve_vcc 1
		.amdhsa_float_round_mode_32 0
		.amdhsa_float_round_mode_16_64 0
		.amdhsa_float_denorm_mode_32 3
		.amdhsa_float_denorm_mode_16_64 3
		.amdhsa_dx10_clamp 1
		.amdhsa_ieee_mode 1
		.amdhsa_fp16_overflow 0
		.amdhsa_tg_split 0
		.amdhsa_exception_fp_ieee_invalid_op 0
		.amdhsa_exception_fp_denorm_src 0
		.amdhsa_exception_fp_ieee_div_zero 0
		.amdhsa_exception_fp_ieee_overflow 0
		.amdhsa_exception_fp_ieee_underflow 0
		.amdhsa_exception_fp_ieee_inexact 0
		.amdhsa_exception_int_div_zero 0
	.end_amdhsa_kernel
	.section	.text._ZN7rocprim17ROCPRIM_304000_NS6detail31init_lookback_scan_state_kernelINS1_19lookback_scan_stateIsLb0ELb1EEEEEvT_jjPNS5_10value_typeE,"axG",@progbits,_ZN7rocprim17ROCPRIM_304000_NS6detail31init_lookback_scan_state_kernelINS1_19lookback_scan_stateIsLb0ELb1EEEEEvT_jjPNS5_10value_typeE,comdat
.Lfunc_end37:
	.size	_ZN7rocprim17ROCPRIM_304000_NS6detail31init_lookback_scan_state_kernelINS1_19lookback_scan_stateIsLb0ELb1EEEEEvT_jjPNS5_10value_typeE, .Lfunc_end37-_ZN7rocprim17ROCPRIM_304000_NS6detail31init_lookback_scan_state_kernelINS1_19lookback_scan_stateIsLb0ELb1EEEEEvT_jjPNS5_10value_typeE
                                        ; -- End function
	.section	.AMDGPU.csdata,"",@progbits
; Kernel info:
; codeLenInByte = 272
; NumSgprs: 16
; NumVgprs: 6
; NumAgprs: 0
; TotalNumVgprs: 6
; ScratchSize: 0
; MemoryBound: 0
; FloatMode: 240
; IeeeMode: 1
; LDSByteSize: 0 bytes/workgroup (compile time only)
; SGPRBlocks: 1
; VGPRBlocks: 0
; NumSGPRsForWavesPerEU: 16
; NumVGPRsForWavesPerEU: 6
; AccumOffset: 8
; Occupancy: 8
; WaveLimiterHint : 0
; COMPUTE_PGM_RSRC2:SCRATCH_EN: 0
; COMPUTE_PGM_RSRC2:USER_SGPR: 2
; COMPUTE_PGM_RSRC2:TRAP_HANDLER: 0
; COMPUTE_PGM_RSRC2:TGID_X_EN: 1
; COMPUTE_PGM_RSRC2:TGID_Y_EN: 0
; COMPUTE_PGM_RSRC2:TGID_Z_EN: 0
; COMPUTE_PGM_RSRC2:TIDIG_COMP_CNT: 0
; COMPUTE_PGM_RSRC3_GFX90A:ACCUM_OFFSET: 1
; COMPUTE_PGM_RSRC3_GFX90A:TG_SPLIT: 0
	.section	.text._ZN7rocprim17ROCPRIM_304000_NS6detail20lookback_scan_kernelILNS1_25lookback_scan_determinismE0ELb0ENS1_19wrapped_scan_configINS0_14default_configEsEEPKsPsSt10multipliesIsEssNS1_19lookback_scan_stateIsLb1ELb1EEEEEvT2_T3_mT5_T4_T7_jPT6_SK_bb,"axG",@progbits,_ZN7rocprim17ROCPRIM_304000_NS6detail20lookback_scan_kernelILNS1_25lookback_scan_determinismE0ELb0ENS1_19wrapped_scan_configINS0_14default_configEsEEPKsPsSt10multipliesIsEssNS1_19lookback_scan_stateIsLb1ELb1EEEEEvT2_T3_mT5_T4_T7_jPT6_SK_bb,comdat
	.protected	_ZN7rocprim17ROCPRIM_304000_NS6detail20lookback_scan_kernelILNS1_25lookback_scan_determinismE0ELb0ENS1_19wrapped_scan_configINS0_14default_configEsEEPKsPsSt10multipliesIsEssNS1_19lookback_scan_stateIsLb1ELb1EEEEEvT2_T3_mT5_T4_T7_jPT6_SK_bb ; -- Begin function _ZN7rocprim17ROCPRIM_304000_NS6detail20lookback_scan_kernelILNS1_25lookback_scan_determinismE0ELb0ENS1_19wrapped_scan_configINS0_14default_configEsEEPKsPsSt10multipliesIsEssNS1_19lookback_scan_stateIsLb1ELb1EEEEEvT2_T3_mT5_T4_T7_jPT6_SK_bb
	.globl	_ZN7rocprim17ROCPRIM_304000_NS6detail20lookback_scan_kernelILNS1_25lookback_scan_determinismE0ELb0ENS1_19wrapped_scan_configINS0_14default_configEsEEPKsPsSt10multipliesIsEssNS1_19lookback_scan_stateIsLb1ELb1EEEEEvT2_T3_mT5_T4_T7_jPT6_SK_bb
	.p2align	8
	.type	_ZN7rocprim17ROCPRIM_304000_NS6detail20lookback_scan_kernelILNS1_25lookback_scan_determinismE0ELb0ENS1_19wrapped_scan_configINS0_14default_configEsEEPKsPsSt10multipliesIsEssNS1_19lookback_scan_stateIsLb1ELb1EEEEEvT2_T3_mT5_T4_T7_jPT6_SK_bb,@function
_ZN7rocprim17ROCPRIM_304000_NS6detail20lookback_scan_kernelILNS1_25lookback_scan_determinismE0ELb0ENS1_19wrapped_scan_configINS0_14default_configEsEEPKsPsSt10multipliesIsEssNS1_19lookback_scan_stateIsLb1ELb1EEEEEvT2_T3_mT5_T4_T7_jPT6_SK_bb: ; @_ZN7rocprim17ROCPRIM_304000_NS6detail20lookback_scan_kernelILNS1_25lookback_scan_determinismE0ELb0ENS1_19wrapped_scan_configINS0_14default_configEsEEPKsPsSt10multipliesIsEssNS1_19lookback_scan_stateIsLb1ELb1EEEEEvT2_T3_mT5_T4_T7_jPT6_SK_bb
; %bb.0:
	s_endpgm
	.section	.rodata,"a",@progbits
	.p2align	6, 0x0
	.amdhsa_kernel _ZN7rocprim17ROCPRIM_304000_NS6detail20lookback_scan_kernelILNS1_25lookback_scan_determinismE0ELb0ENS1_19wrapped_scan_configINS0_14default_configEsEEPKsPsSt10multipliesIsEssNS1_19lookback_scan_stateIsLb1ELb1EEEEEvT2_T3_mT5_T4_T7_jPT6_SK_bb
		.amdhsa_group_segment_fixed_size 0
		.amdhsa_private_segment_fixed_size 0
		.amdhsa_kernarg_size 68
		.amdhsa_user_sgpr_count 2
		.amdhsa_user_sgpr_dispatch_ptr 0
		.amdhsa_user_sgpr_queue_ptr 0
		.amdhsa_user_sgpr_kernarg_segment_ptr 1
		.amdhsa_user_sgpr_dispatch_id 0
		.amdhsa_user_sgpr_kernarg_preload_length 0
		.amdhsa_user_sgpr_kernarg_preload_offset 0
		.amdhsa_user_sgpr_private_segment_size 0
		.amdhsa_uses_dynamic_stack 0
		.amdhsa_enable_private_segment 0
		.amdhsa_system_sgpr_workgroup_id_x 1
		.amdhsa_system_sgpr_workgroup_id_y 0
		.amdhsa_system_sgpr_workgroup_id_z 0
		.amdhsa_system_sgpr_workgroup_info 0
		.amdhsa_system_vgpr_workitem_id 0
		.amdhsa_next_free_vgpr 1
		.amdhsa_next_free_sgpr 0
		.amdhsa_accum_offset 4
		.amdhsa_reserve_vcc 0
		.amdhsa_float_round_mode_32 0
		.amdhsa_float_round_mode_16_64 0
		.amdhsa_float_denorm_mode_32 3
		.amdhsa_float_denorm_mode_16_64 3
		.amdhsa_dx10_clamp 1
		.amdhsa_ieee_mode 1
		.amdhsa_fp16_overflow 0
		.amdhsa_tg_split 0
		.amdhsa_exception_fp_ieee_invalid_op 0
		.amdhsa_exception_fp_denorm_src 0
		.amdhsa_exception_fp_ieee_div_zero 0
		.amdhsa_exception_fp_ieee_overflow 0
		.amdhsa_exception_fp_ieee_underflow 0
		.amdhsa_exception_fp_ieee_inexact 0
		.amdhsa_exception_int_div_zero 0
	.end_amdhsa_kernel
	.section	.text._ZN7rocprim17ROCPRIM_304000_NS6detail20lookback_scan_kernelILNS1_25lookback_scan_determinismE0ELb0ENS1_19wrapped_scan_configINS0_14default_configEsEEPKsPsSt10multipliesIsEssNS1_19lookback_scan_stateIsLb1ELb1EEEEEvT2_T3_mT5_T4_T7_jPT6_SK_bb,"axG",@progbits,_ZN7rocprim17ROCPRIM_304000_NS6detail20lookback_scan_kernelILNS1_25lookback_scan_determinismE0ELb0ENS1_19wrapped_scan_configINS0_14default_configEsEEPKsPsSt10multipliesIsEssNS1_19lookback_scan_stateIsLb1ELb1EEEEEvT2_T3_mT5_T4_T7_jPT6_SK_bb,comdat
.Lfunc_end38:
	.size	_ZN7rocprim17ROCPRIM_304000_NS6detail20lookback_scan_kernelILNS1_25lookback_scan_determinismE0ELb0ENS1_19wrapped_scan_configINS0_14default_configEsEEPKsPsSt10multipliesIsEssNS1_19lookback_scan_stateIsLb1ELb1EEEEEvT2_T3_mT5_T4_T7_jPT6_SK_bb, .Lfunc_end38-_ZN7rocprim17ROCPRIM_304000_NS6detail20lookback_scan_kernelILNS1_25lookback_scan_determinismE0ELb0ENS1_19wrapped_scan_configINS0_14default_configEsEEPKsPsSt10multipliesIsEssNS1_19lookback_scan_stateIsLb1ELb1EEEEEvT2_T3_mT5_T4_T7_jPT6_SK_bb
                                        ; -- End function
	.section	.AMDGPU.csdata,"",@progbits
; Kernel info:
; codeLenInByte = 4
; NumSgprs: 6
; NumVgprs: 0
; NumAgprs: 0
; TotalNumVgprs: 0
; ScratchSize: 0
; MemoryBound: 0
; FloatMode: 240
; IeeeMode: 1
; LDSByteSize: 0 bytes/workgroup (compile time only)
; SGPRBlocks: 0
; VGPRBlocks: 0
; NumSGPRsForWavesPerEU: 6
; NumVGPRsForWavesPerEU: 1
; AccumOffset: 4
; Occupancy: 8
; WaveLimiterHint : 0
; COMPUTE_PGM_RSRC2:SCRATCH_EN: 0
; COMPUTE_PGM_RSRC2:USER_SGPR: 2
; COMPUTE_PGM_RSRC2:TRAP_HANDLER: 0
; COMPUTE_PGM_RSRC2:TGID_X_EN: 1
; COMPUTE_PGM_RSRC2:TGID_Y_EN: 0
; COMPUTE_PGM_RSRC2:TGID_Z_EN: 0
; COMPUTE_PGM_RSRC2:TIDIG_COMP_CNT: 0
; COMPUTE_PGM_RSRC3_GFX90A:ACCUM_OFFSET: 0
; COMPUTE_PGM_RSRC3_GFX90A:TG_SPLIT: 0
	.section	.text._ZN7rocprim17ROCPRIM_304000_NS6detail20lookback_scan_kernelILNS1_25lookback_scan_determinismE0ELb0ENS1_19wrapped_scan_configINS0_14default_configEsEEPKsPsSt10multipliesIsEssNS1_19lookback_scan_stateIsLb0ELb1EEEEEvT2_T3_mT5_T4_T7_jPT6_SK_bb,"axG",@progbits,_ZN7rocprim17ROCPRIM_304000_NS6detail20lookback_scan_kernelILNS1_25lookback_scan_determinismE0ELb0ENS1_19wrapped_scan_configINS0_14default_configEsEEPKsPsSt10multipliesIsEssNS1_19lookback_scan_stateIsLb0ELb1EEEEEvT2_T3_mT5_T4_T7_jPT6_SK_bb,comdat
	.protected	_ZN7rocprim17ROCPRIM_304000_NS6detail20lookback_scan_kernelILNS1_25lookback_scan_determinismE0ELb0ENS1_19wrapped_scan_configINS0_14default_configEsEEPKsPsSt10multipliesIsEssNS1_19lookback_scan_stateIsLb0ELb1EEEEEvT2_T3_mT5_T4_T7_jPT6_SK_bb ; -- Begin function _ZN7rocprim17ROCPRIM_304000_NS6detail20lookback_scan_kernelILNS1_25lookback_scan_determinismE0ELb0ENS1_19wrapped_scan_configINS0_14default_configEsEEPKsPsSt10multipliesIsEssNS1_19lookback_scan_stateIsLb0ELb1EEEEEvT2_T3_mT5_T4_T7_jPT6_SK_bb
	.globl	_ZN7rocprim17ROCPRIM_304000_NS6detail20lookback_scan_kernelILNS1_25lookback_scan_determinismE0ELb0ENS1_19wrapped_scan_configINS0_14default_configEsEEPKsPsSt10multipliesIsEssNS1_19lookback_scan_stateIsLb0ELb1EEEEEvT2_T3_mT5_T4_T7_jPT6_SK_bb
	.p2align	8
	.type	_ZN7rocprim17ROCPRIM_304000_NS6detail20lookback_scan_kernelILNS1_25lookback_scan_determinismE0ELb0ENS1_19wrapped_scan_configINS0_14default_configEsEEPKsPsSt10multipliesIsEssNS1_19lookback_scan_stateIsLb0ELb1EEEEEvT2_T3_mT5_T4_T7_jPT6_SK_bb,@function
_ZN7rocprim17ROCPRIM_304000_NS6detail20lookback_scan_kernelILNS1_25lookback_scan_determinismE0ELb0ENS1_19wrapped_scan_configINS0_14default_configEsEEPKsPsSt10multipliesIsEssNS1_19lookback_scan_stateIsLb0ELb1EEEEEvT2_T3_mT5_T4_T7_jPT6_SK_bb: ; @_ZN7rocprim17ROCPRIM_304000_NS6detail20lookback_scan_kernelILNS1_25lookback_scan_determinismE0ELb0ENS1_19wrapped_scan_configINS0_14default_configEsEEPKsPsSt10multipliesIsEssNS1_19lookback_scan_stateIsLb0ELb1EEEEEvT2_T3_mT5_T4_T7_jPT6_SK_bb
; %bb.0:
	s_load_dword s3, s[0:1], 0x28
	s_load_dwordx4 s[12:15], s[0:1], 0x0
	s_load_dwordx2 s[4:5], s[0:1], 0x10
	s_mul_i32 s6, s2, 0x1800
	s_mov_b32 s7, 0
	s_waitcnt lgkmcnt(0)
	s_add_i32 s3, s3, -1
	s_mul_i32 s8, s3, 0x1800
	s_sub_u32 s22, s4, s8
	s_subb_u32 s23, s5, 0
	s_cmp_lg_u32 s2, s3
	s_cselect_b64 s[16:17], -1, 0
	s_lshl_b64 s[18:19], s[6:7], 1
	s_add_u32 s6, s12, s18
	s_addc_u32 s7, s13, s19
	s_mov_b64 s[4:5], -1
	s_and_b64 vcc, exec, s[16:17]
	v_lshlrev_b32_e32 v14, 1, v0
	s_cbranch_vccz .LBB39_2
; %bb.1:
	v_mov_b32_e32 v15, 0
	v_lshl_add_u64 v[2:3], s[6:7], 0, v[14:15]
	v_add_co_u32_e32 v4, vcc, 0x1000, v2
	global_load_ushort v1, v14, s[6:7]
	global_load_ushort v6, v14, s[6:7] offset:512
	global_load_ushort v7, v14, s[6:7] offset:1024
	;; [unrolled: 1-line block ×7, first 2 shown]
	v_addc_co_u32_e32 v5, vcc, 0, v3, vcc
	v_add_co_u32_e32 v2, vcc, 0x2000, v2
	global_load_ushort v13, v[4:5], off
	global_load_ushort v15, v[4:5], off offset:512
	global_load_ushort v16, v[4:5], off offset:1024
	;; [unrolled: 1-line block ×7, first 2 shown]
	v_addc_co_u32_e32 v3, vcc, 0, v3, vcc
	global_load_ushort v4, v[2:3], off
	global_load_ushort v5, v[2:3], off offset:512
	global_load_ushort v22, v[2:3], off offset:1024
	;; [unrolled: 1-line block ×7, first 2 shown]
	s_mov_b64 s[4:5], 0
	s_waitcnt vmcnt(23)
	ds_write_b16 v14, v1
	s_waitcnt vmcnt(22)
	ds_write_b16 v14, v6 offset:512
	s_waitcnt vmcnt(21)
	ds_write_b16 v14, v7 offset:1024
	;; [unrolled: 2-line block ×23, first 2 shown]
	s_waitcnt lgkmcnt(0)
	s_barrier
.LBB39_2:
	s_andn2_b64 vcc, exec, s[4:5]
	v_cmp_gt_u32_e64 s[4:5], s22, v0
	s_cbranch_vccnz .LBB39_52
; %bb.3:
	v_mov_b32_e32 v15, 0
	global_load_ushort v1, v15, s[6:7]
	v_lshl_add_u64 v[2:3], s[6:7], 0, v[14:15]
	s_waitcnt vmcnt(0)
	v_mov_b32_e32 v4, v1
	s_and_saveexec_b64 s[6:7], s[4:5]
	s_cbranch_execz .LBB39_5
; %bb.4:
	global_load_ushort v4, v[2:3], off
.LBB39_5:
	s_or_b64 exec, exec, s[6:7]
	v_or_b32_e32 v5, 0x100, v0
	v_cmp_gt_u32_e32 vcc, s22, v5
	v_mov_b32_e32 v5, v1
	s_and_saveexec_b64 s[4:5], vcc
	s_cbranch_execz .LBB39_7
; %bb.6:
	global_load_ushort v5, v[2:3], off offset:512
.LBB39_7:
	s_or_b64 exec, exec, s[4:5]
	v_or_b32_e32 v6, 0x200, v0
	v_cmp_gt_u32_e32 vcc, s22, v6
	v_mov_b32_e32 v6, v1
	s_and_saveexec_b64 s[4:5], vcc
	s_cbranch_execz .LBB39_9
; %bb.8:
	global_load_ushort v6, v[2:3], off offset:1024
.LBB39_9:
	s_or_b64 exec, exec, s[4:5]
	v_or_b32_e32 v7, 0x300, v0
	v_cmp_gt_u32_e32 vcc, s22, v7
	v_mov_b32_e32 v7, v1
	s_and_saveexec_b64 s[4:5], vcc
	s_cbranch_execz .LBB39_11
; %bb.10:
	global_load_ushort v7, v[2:3], off offset:1536
.LBB39_11:
	s_or_b64 exec, exec, s[4:5]
	v_or_b32_e32 v8, 0x400, v0
	v_cmp_gt_u32_e32 vcc, s22, v8
	v_mov_b32_e32 v8, v1
	s_and_saveexec_b64 s[4:5], vcc
	s_cbranch_execz .LBB39_13
; %bb.12:
	global_load_ushort v8, v[2:3], off offset:2048
.LBB39_13:
	s_or_b64 exec, exec, s[4:5]
	v_or_b32_e32 v9, 0x500, v0
	v_cmp_gt_u32_e32 vcc, s22, v9
	v_mov_b32_e32 v9, v1
	s_and_saveexec_b64 s[4:5], vcc
	s_cbranch_execz .LBB39_15
; %bb.14:
	global_load_ushort v9, v[2:3], off offset:2560
.LBB39_15:
	s_or_b64 exec, exec, s[4:5]
	v_or_b32_e32 v10, 0x600, v0
	v_cmp_gt_u32_e32 vcc, s22, v10
	v_mov_b32_e32 v10, v1
	s_and_saveexec_b64 s[4:5], vcc
	s_cbranch_execz .LBB39_17
; %bb.16:
	global_load_ushort v10, v[2:3], off offset:3072
.LBB39_17:
	s_or_b64 exec, exec, s[4:5]
	v_or_b32_e32 v11, 0x700, v0
	v_cmp_gt_u32_e32 vcc, s22, v11
	v_mov_b32_e32 v11, v1
	s_and_saveexec_b64 s[4:5], vcc
	s_cbranch_execz .LBB39_19
; %bb.18:
	global_load_ushort v11, v[2:3], off offset:3584
.LBB39_19:
	s_or_b64 exec, exec, s[4:5]
	v_or_b32_e32 v12, 0x800, v0
	v_cmp_gt_u32_e32 vcc, s22, v12
	v_mov_b32_e32 v12, v1
	s_and_saveexec_b64 s[4:5], vcc
	s_cbranch_execz .LBB39_21
; %bb.20:
	v_add_co_u32_e32 v12, vcc, 0x1000, v2
	s_nop 1
	v_addc_co_u32_e32 v13, vcc, 0, v3, vcc
	global_load_ushort v12, v[12:13], off
.LBB39_21:
	s_or_b64 exec, exec, s[4:5]
	v_or_b32_e32 v13, 0x900, v0
	v_cmp_gt_u32_e32 vcc, s22, v13
	v_mov_b32_e32 v13, v1
	s_and_saveexec_b64 s[4:5], vcc
	s_cbranch_execz .LBB39_23
; %bb.22:
	v_add_co_u32_e32 v16, vcc, 0x1000, v2
	s_nop 1
	v_addc_co_u32_e32 v17, vcc, 0, v3, vcc
	global_load_ushort v13, v[16:17], off offset:512
.LBB39_23:
	s_or_b64 exec, exec, s[4:5]
	v_or_b32_e32 v15, 0xa00, v0
	v_cmp_gt_u32_e32 vcc, s22, v15
	v_mov_b32_e32 v15, v1
	s_and_saveexec_b64 s[4:5], vcc
	s_cbranch_execz .LBB39_25
; %bb.24:
	v_add_co_u32_e32 v16, vcc, 0x1000, v2
	s_nop 1
	v_addc_co_u32_e32 v17, vcc, 0, v3, vcc
	global_load_ushort v15, v[16:17], off offset:1024
.LBB39_25:
	s_or_b64 exec, exec, s[4:5]
	v_or_b32_e32 v16, 0xb00, v0
	v_cmp_gt_u32_e32 vcc, s22, v16
	v_mov_b32_e32 v16, v1
	s_and_saveexec_b64 s[4:5], vcc
	s_cbranch_execz .LBB39_27
; %bb.26:
	v_add_co_u32_e32 v16, vcc, 0x1000, v2
	s_nop 1
	v_addc_co_u32_e32 v17, vcc, 0, v3, vcc
	global_load_ushort v16, v[16:17], off offset:1536
.LBB39_27:
	s_or_b64 exec, exec, s[4:5]
	v_or_b32_e32 v17, 0xc00, v0
	v_cmp_gt_u32_e32 vcc, s22, v17
	v_mov_b32_e32 v17, v1
	s_and_saveexec_b64 s[4:5], vcc
	s_cbranch_execz .LBB39_29
; %bb.28:
	v_add_co_u32_e32 v18, vcc, 0x1000, v2
	s_nop 1
	v_addc_co_u32_e32 v19, vcc, 0, v3, vcc
	global_load_ushort v17, v[18:19], off offset:2048
.LBB39_29:
	s_or_b64 exec, exec, s[4:5]
	v_or_b32_e32 v18, 0xd00, v0
	v_cmp_gt_u32_e32 vcc, s22, v18
	v_mov_b32_e32 v18, v1
	s_and_saveexec_b64 s[4:5], vcc
	s_cbranch_execz .LBB39_31
; %bb.30:
	v_add_co_u32_e32 v18, vcc, 0x1000, v2
	s_nop 1
	v_addc_co_u32_e32 v19, vcc, 0, v3, vcc
	global_load_ushort v18, v[18:19], off offset:2560
.LBB39_31:
	s_or_b64 exec, exec, s[4:5]
	v_or_b32_e32 v19, 0xe00, v0
	v_cmp_gt_u32_e32 vcc, s22, v19
	v_mov_b32_e32 v19, v1
	s_and_saveexec_b64 s[4:5], vcc
	s_cbranch_execz .LBB39_33
; %bb.32:
	v_add_co_u32_e32 v20, vcc, 0x1000, v2
	s_nop 1
	v_addc_co_u32_e32 v21, vcc, 0, v3, vcc
	global_load_ushort v19, v[20:21], off offset:3072
.LBB39_33:
	s_or_b64 exec, exec, s[4:5]
	v_or_b32_e32 v20, 0xf00, v0
	v_cmp_gt_u32_e32 vcc, s22, v20
	v_mov_b32_e32 v20, v1
	s_and_saveexec_b64 s[4:5], vcc
	s_cbranch_execz .LBB39_35
; %bb.34:
	v_add_co_u32_e32 v20, vcc, 0x1000, v2
	s_nop 1
	v_addc_co_u32_e32 v21, vcc, 0, v3, vcc
	global_load_ushort v20, v[20:21], off offset:3584
.LBB39_35:
	s_or_b64 exec, exec, s[4:5]
	v_or_b32_e32 v21, 0x1000, v0
	v_cmp_gt_u32_e32 vcc, s22, v21
	v_mov_b32_e32 v21, v1
	s_and_saveexec_b64 s[4:5], vcc
	s_cbranch_execz .LBB39_37
; %bb.36:
	v_add_co_u32_e32 v22, vcc, 0x2000, v2
	s_nop 1
	v_addc_co_u32_e32 v23, vcc, 0, v3, vcc
	global_load_ushort v21, v[22:23], off
.LBB39_37:
	s_or_b64 exec, exec, s[4:5]
	v_or_b32_e32 v22, 0x1100, v0
	v_cmp_gt_u32_e32 vcc, s22, v22
	v_mov_b32_e32 v22, v1
	s_and_saveexec_b64 s[4:5], vcc
	s_cbranch_execz .LBB39_39
; %bb.38:
	v_add_co_u32_e32 v22, vcc, 0x2000, v2
	s_nop 1
	v_addc_co_u32_e32 v23, vcc, 0, v3, vcc
	global_load_ushort v22, v[22:23], off offset:512
.LBB39_39:
	s_or_b64 exec, exec, s[4:5]
	v_or_b32_e32 v23, 0x1200, v0
	v_cmp_gt_u32_e32 vcc, s22, v23
	v_mov_b32_e32 v23, v1
	s_and_saveexec_b64 s[4:5], vcc
	s_cbranch_execz .LBB39_41
; %bb.40:
	v_add_co_u32_e32 v24, vcc, 0x2000, v2
	s_nop 1
	v_addc_co_u32_e32 v25, vcc, 0, v3, vcc
	global_load_ushort v23, v[24:25], off offset:1024
.LBB39_41:
	;; [unrolled: 12-line block ×6, first 2 shown]
	s_or_b64 exec, exec, s[4:5]
	v_or_b32_e32 v28, 0x1700, v0
	v_cmp_gt_u32_e32 vcc, s22, v28
	s_and_saveexec_b64 s[4:5], vcc
	s_cbranch_execz .LBB39_51
; %bb.50:
	v_add_co_u32_e32 v2, vcc, 0x2000, v2
	s_nop 1
	v_addc_co_u32_e32 v3, vcc, 0, v3, vcc
	global_load_ushort v1, v[2:3], off offset:3584
.LBB39_51:
	s_or_b64 exec, exec, s[4:5]
	s_waitcnt vmcnt(0)
	ds_write_b16 v14, v4
	ds_write_b16 v14, v5 offset:512
	ds_write_b16 v14, v6 offset:1024
	;; [unrolled: 1-line block ×23, first 2 shown]
	s_waitcnt lgkmcnt(0)
	s_barrier
.LBB39_52:
	v_mul_u32_u24_e32 v22, 24, v0
	v_lshlrev_b32_e32 v1, 1, v22
	ds_read_b128 v[10:13], v1
	ds_read_b128 v[6:9], v1 offset:16
	ds_read_b128 v[2:5], v1 offset:32
	s_load_dwordx2 s[12:13], s[0:1], 0x20
	s_cmp_lg_u32 s2, 0
	v_mbcnt_lo_u32_b32 v24, -1, 0
	v_lshrrev_b32_e32 v15, 6, v0
	v_or_b32_e32 v23, 63, v0
	s_waitcnt lgkmcnt(0)
	s_barrier
	s_cbranch_scc0 .LBB39_79
; %bb.53:
	v_mul_lo_u16_sdwa v16, v10, v10 dst_sel:DWORD dst_unused:UNUSED_PAD src0_sel:WORD_1 src1_sel:DWORD
	v_mul_lo_u16_e32 v16, v16, v11
	v_mul_lo_u16_sdwa v16, v16, v11 dst_sel:DWORD dst_unused:UNUSED_PAD src0_sel:DWORD src1_sel:WORD_1
	v_mul_lo_u16_e32 v16, v16, v12
	v_mul_lo_u16_sdwa v16, v16, v12 dst_sel:DWORD dst_unused:UNUSED_PAD src0_sel:DWORD src1_sel:WORD_1
	;; [unrolled: 2-line block ×11, first 2 shown]
	v_mbcnt_hi_u32_b32 v17, -1, v24
	v_and_b32_e32 v18, 15, v17
	v_mov_b32_dpp v19, v16 row_shr:1 row_mask:0xf bank_mask:0xf
	v_mul_lo_u16_e32 v19, v16, v19
	v_cmp_eq_u32_e32 vcc, 0, v18
	s_nop 1
	v_cndmask_b32_e32 v16, v19, v16, vcc
	v_cmp_lt_u32_e32 vcc, 1, v18
	s_nop 0
	v_mov_b32_dpp v19, v16 row_shr:2 row_mask:0xf bank_mask:0xf
	v_mul_lo_u16_e32 v19, v16, v19
	v_cndmask_b32_e32 v16, v16, v19, vcc
	v_cmp_lt_u32_e32 vcc, 3, v18
	s_nop 0
	v_mov_b32_dpp v19, v16 row_shr:4 row_mask:0xf bank_mask:0xf
	v_mul_lo_u16_e32 v19, v16, v19
	;; [unrolled: 5-line block ×3, first 2 shown]
	v_cndmask_b32_e32 v16, v16, v19, vcc
	v_and_b32_e32 v19, 16, v17
	v_cmp_eq_u32_e32 vcc, 0, v19
	v_mov_b32_dpp v18, v16 row_bcast:15 row_mask:0xf bank_mask:0xf
	v_mul_lo_u16_e32 v18, v16, v18
	v_cndmask_b32_e32 v16, v18, v16, vcc
	v_cmp_lt_u32_e32 vcc, 31, v17
	s_nop 0
	v_mov_b32_dpp v18, v16 row_bcast:31 row_mask:0xf bank_mask:0xf
	v_cndmask_b32_e32 v18, 1, v18, vcc
	v_mul_lo_u16_e32 v16, v16, v18
	v_cmp_eq_u32_e32 vcc, v23, v0
	s_and_saveexec_b64 s[4:5], vcc
	s_cbranch_execz .LBB39_55
; %bb.54:
	v_lshlrev_b32_e32 v18, 1, v15
	ds_write_b16 v18, v16
.LBB39_55:
	s_or_b64 exec, exec, s[4:5]
	v_cmp_gt_u32_e32 vcc, 4, v0
	s_waitcnt lgkmcnt(0)
	s_barrier
	s_and_saveexec_b64 s[4:5], vcc
	s_cbranch_execz .LBB39_57
; %bb.56:
	ds_read_u16 v18, v14
	v_and_b32_e32 v19, 3, v17
	v_cmp_eq_u32_e32 vcc, 0, v19
	s_waitcnt lgkmcnt(0)
	v_and_b32_e32 v20, 0xffff, v18
	s_nop 1
	v_mov_b32_dpp v21, v20 row_shr:1 row_mask:0xf bank_mask:0xf
	v_mul_lo_u16_e32 v21, v18, v21
	v_cndmask_b32_e32 v20, v21, v20, vcc
	v_cndmask_b32_e32 v18, v21, v18, vcc
	v_cmp_lt_u32_e32 vcc, 1, v19
	v_mov_b32_dpp v20, v20 row_shr:2 row_mask:0xf bank_mask:0xf
	s_nop 0
	v_cndmask_b32_e32 v19, 1, v20, vcc
	v_mul_lo_u16_e32 v18, v18, v19
	ds_write_b16 v14, v18
.LBB39_57:
	s_or_b64 exec, exec, s[4:5]
	v_cmp_gt_u32_e32 vcc, 64, v0
	v_cmp_lt_u32_e64 s[4:5], 63, v0
	s_waitcnt lgkmcnt(0)
	s_barrier
	s_waitcnt lgkmcnt(0)
                                        ; implicit-def: $vgpr25
	s_and_saveexec_b64 s[6:7], s[4:5]
	s_cbranch_execz .LBB39_59
; %bb.58:
	v_lshl_add_u32 v18, v15, 1, -2
	ds_read_u16 v25, v18
	s_waitcnt lgkmcnt(0)
	v_mul_lo_u16_e32 v16, v25, v16
.LBB39_59:
	s_or_b64 exec, exec, s[6:7]
	v_add_u32_e32 v18, -1, v17
	v_and_b32_e32 v19, 64, v17
	v_cmp_lt_i32_e64 s[4:5], v18, v19
	v_and_b32_e32 v16, 0xffff, v16
	s_nop 0
	v_cndmask_b32_e64 v18, v18, v17, s[4:5]
	v_lshlrev_b32_e32 v18, 2, v18
	ds_bpermute_b32 v26, v18, v16
	v_cmp_eq_u32_e64 s[4:5], 0, v17
	s_and_saveexec_b64 s[20:21], vcc
	s_cbranch_execz .LBB39_78
; %bb.60:
	v_mov_b32_e32 v19, 0
	ds_read_u16 v27, v19 offset:6
	s_and_saveexec_b64 s[6:7], s[4:5]
	s_cbranch_execz .LBB39_62
; %bb.61:
	s_add_i32 s8, s2, 64
	s_mov_b32 s9, 0
	s_lshl_b64 s[8:9], s[8:9], 2
	s_add_u32 s8, s12, s8
	s_addc_u32 s9, s13, s9
	s_waitcnt lgkmcnt(0)
	v_or_b32_e32 v16, 0x10000, v27
	global_store_dword v19, v16, s[8:9] sc1
.LBB39_62:
	s_or_b64 exec, exec, s[6:7]
	v_xad_u32 v16, v17, -1, s2
	v_add_u32_e32 v18, 64, v16
	v_lshl_add_u64 v[20:21], v[18:19], 2, s[12:13]
	global_load_dword v40, v[20:21], off sc1
	s_waitcnt vmcnt(0)
	v_lshrrev_b32_e32 v28, 16, v40
	v_cmp_eq_u16_sdwa s[8:9], v28, v19 src0_sel:BYTE_0 src1_sel:DWORD
	s_and_saveexec_b64 s[6:7], s[8:9]
	s_cbranch_execz .LBB39_66
; %bb.63:
	s_mov_b64 s[8:9], 0
	v_mov_b32_e32 v18, 0
.LBB39_64:                              ; =>This Inner Loop Header: Depth=1
	global_load_dword v40, v[20:21], off sc1
	s_waitcnt vmcnt(0)
	v_lshrrev_b32_e32 v28, 16, v40
	v_cmp_ne_u16_sdwa s[10:11], v28, v18 src0_sel:BYTE_0 src1_sel:DWORD
	s_or_b64 s[8:9], s[10:11], s[8:9]
	s_andn2_b64 exec, exec, s[8:9]
	s_cbranch_execnz .LBB39_64
; %bb.65:
	s_or_b64 exec, exec, s[8:9]
.LBB39_66:
	s_or_b64 exec, exec, s[6:7]
	v_and_b32_e32 v41, 63, v17
	v_cmp_ne_u32_e32 vcc, 63, v41
	v_mov_b32_e32 v29, 2
	v_cmp_eq_u16_sdwa s[6:7], v28, v29 src0_sel:BYTE_0 src1_sel:DWORD
	v_addc_co_u32_e32 v30, vcc, 0, v17, vcc
	v_lshlrev_b64 v[18:19], v17, -1
	v_and_b32_e32 v32, 0xffff, v40
	v_lshlrev_b32_e32 v30, 2, v30
	v_and_b32_e32 v20, s7, v19
	ds_bpermute_b32 v33, v30, v32
	v_or_b32_e32 v20, 0x80000000, v20
	v_and_b32_e32 v21, s6, v18
	v_ffbl_b32_e32 v20, v20
	v_add_u32_e32 v20, 32, v20
	v_ffbl_b32_e32 v21, v21
	v_min_u32_e32 v20, v21, v20
	v_add_u32_e32 v31, 1, v17
	s_waitcnt lgkmcnt(0)
	v_mul_lo_u16_e32 v21, v33, v40
	v_cmp_le_u32_e32 vcc, v31, v20
	v_cmp_gt_u32_e64 s[6:7], 62, v41
	v_add_u32_e32 v33, 2, v17
	v_cndmask_b32_e32 v34, v32, v21, vcc
	v_cndmask_b32_e64 v32, 0, 1, s[6:7]
	v_lshlrev_b32_e32 v32, 1, v32
	v_add_lshl_u32 v32, v32, v17, 2
	ds_bpermute_b32 v35, v32, v34
	v_cndmask_b32_e32 v21, v40, v21, vcc
	v_cmp_le_u32_e64 s[6:7], v33, v20
	v_cmp_gt_u32_e64 s[8:9], 60, v41
	v_cmp_gt_u32_e64 s[10:11], 56, v41
	s_waitcnt lgkmcnt(0)
	v_mul_lo_u16_e32 v35, v21, v35
	v_cndmask_b32_e64 v36, v34, v35, s[6:7]
	v_cndmask_b32_e64 v34, 0, 1, s[8:9]
	v_lshlrev_b32_e32 v34, 2, v34
	v_add_lshl_u32 v34, v34, v17, 2
	ds_bpermute_b32 v37, v34, v36
	v_cndmask_b32_e64 v21, v21, v35, s[6:7]
	v_add_u32_e32 v35, 4, v17
	v_cmp_le_u32_e64 s[8:9], v35, v20
	s_waitcnt lgkmcnt(0)
	v_mul_lo_u16_e32 v37, v21, v37
	v_cndmask_b32_e64 v38, v36, v37, s[8:9]
	v_cndmask_b32_e64 v36, 0, 1, s[10:11]
	v_lshlrev_b32_e32 v36, 3, v36
	v_add_lshl_u32 v36, v36, v17, 2
	ds_bpermute_b32 v39, v36, v38
	v_cndmask_b32_e64 v21, v21, v37, s[8:9]
	v_add_u32_e32 v37, 8, v17
	s_or_b64 s[10:11], vcc, s[6:7]
	v_cmp_le_u32_e32 vcc, v37, v20
	s_waitcnt lgkmcnt(0)
	v_mul_lo_u16_e32 v39, v21, v39
	v_cmp_gt_u32_e64 s[6:7], 48, v41
	v_cndmask_b32_e32 v42, v38, v39, vcc
	v_cndmask_b32_e32 v21, v21, v39, vcc
	v_cndmask_b32_e64 v38, 0, 1, s[6:7]
	v_lshlrev_b32_e32 v38, 4, v38
	v_add_lshl_u32 v38, v38, v17, 2
	ds_bpermute_b32 v43, v38, v42
	s_or_b64 s[6:7], s[8:9], s[10:11]
	s_or_b64 s[8:9], vcc, s[6:7]
	v_cmp_gt_u32_e64 s[6:7], 32, v41
	v_add_u32_e32 v39, 16, v17
	s_waitcnt lgkmcnt(0)
	v_mul_lo_u16_e32 v43, v21, v43
	v_cndmask_b32_e64 v41, 0, 1, s[6:7]
	v_cmp_le_u32_e32 vcc, v39, v20
	v_lshlrev_b32_e32 v41, 5, v41
	v_add_lshl_u32 v41, v41, v17, 2
	v_cndmask_b32_e32 v42, v42, v43, vcc
	ds_bpermute_b32 v44, v41, v42
	v_add_u32_e32 v42, 32, v17
	s_or_b64 s[6:7], vcc, s[8:9]
	v_cndmask_b32_e32 v17, v21, v43, vcc
	v_cmp_le_u32_e32 vcc, v42, v20
	s_waitcnt lgkmcnt(0)
	s_nop 0
	v_cndmask_b32_e32 v20, 1, v44, vcc
	v_mul_lo_u16_e32 v17, v17, v20
	s_or_b64 vcc, vcc, s[6:7]
	v_cndmask_b32_e32 v20, v40, v17, vcc
	v_mov_b32_e32 v17, 0
	s_branch .LBB39_68
.LBB39_67:                              ;   in Loop: Header=BB39_68 Depth=1
	s_or_b64 exec, exec, s[6:7]
	v_cmp_eq_u16_sdwa s[6:7], v28, v29 src0_sel:BYTE_0 src1_sel:DWORD
	v_and_b32_e32 v44, 0xffff, v43
	ds_bpermute_b32 v45, v30, v44
	v_and_b32_e32 v20, s7, v19
	v_or_b32_e32 v20, 0x80000000, v20
	v_and_b32_e32 v21, s6, v18
	v_ffbl_b32_e32 v20, v20
	v_add_u32_e32 v20, 32, v20
	v_ffbl_b32_e32 v21, v21
	v_min_u32_e32 v20, v21, v20
	s_waitcnt lgkmcnt(0)
	v_mul_lo_u16_e32 v21, v45, v43
	v_cmp_le_u32_e32 vcc, v31, v20
	v_cmp_le_u32_e64 s[6:7], v33, v20
	v_cmp_le_u32_e64 s[8:9], v35, v20
	v_cndmask_b32_e32 v44, v44, v21, vcc
	ds_bpermute_b32 v45, v32, v44
	v_cndmask_b32_e32 v21, v43, v21, vcc
	v_cmp_le_u32_e64 s[10:11], v37, v20
	v_subrev_u32_e32 v16, 64, v16
	s_waitcnt lgkmcnt(0)
	v_mul_lo_u16_e32 v45, v21, v45
	v_cndmask_b32_e64 v44, v44, v45, s[6:7]
	ds_bpermute_b32 v46, v34, v44
	v_cndmask_b32_e64 v21, v21, v45, s[6:7]
	s_or_b64 s[6:7], vcc, s[6:7]
	v_cmp_le_u32_e32 vcc, v39, v20
	s_or_b64 s[6:7], s[8:9], s[6:7]
	s_waitcnt lgkmcnt(0)
	v_mul_lo_u16_e32 v45, v21, v46
	v_cndmask_b32_e64 v44, v44, v45, s[8:9]
	ds_bpermute_b32 v46, v36, v44
	v_cndmask_b32_e64 v21, v21, v45, s[8:9]
	s_or_b64 s[6:7], s[10:11], s[6:7]
	s_or_b64 s[6:7], vcc, s[6:7]
	s_waitcnt lgkmcnt(0)
	v_mul_lo_u16_e32 v45, v21, v46
	v_cndmask_b32_e64 v44, v44, v45, s[10:11]
	ds_bpermute_b32 v46, v38, v44
	v_cndmask_b32_e64 v21, v21, v45, s[10:11]
	s_waitcnt lgkmcnt(0)
	v_mul_lo_u16_e32 v45, v21, v46
	v_cndmask_b32_e32 v44, v44, v45, vcc
	ds_bpermute_b32 v44, v41, v44
	v_cndmask_b32_e32 v21, v21, v45, vcc
	v_cmp_le_u32_e32 vcc, v42, v20
	s_waitcnt lgkmcnt(0)
	s_nop 0
	v_cndmask_b32_e32 v20, 1, v44, vcc
	v_mul_lo_u16_e32 v20, v21, v20
	s_or_b64 vcc, vcc, s[6:7]
	v_cndmask_b32_e32 v20, v43, v20, vcc
	v_mul_lo_u16_e32 v20, v20, v40
.LBB39_68:                              ; =>This Loop Header: Depth=1
                                        ;     Child Loop BB39_71 Depth 2
	v_cmp_ne_u16_sdwa s[6:7], v28, v29 src0_sel:BYTE_0 src1_sel:DWORD
	v_mov_b32_e32 v40, v20
	s_nop 0
	v_cndmask_b32_e64 v21, 0, 1, s[6:7]
	;;#ASMSTART
	;;#ASMEND
	s_nop 0
	v_cmp_ne_u32_e32 vcc, 0, v21
	s_cmp_lg_u64 vcc, exec
	s_cbranch_scc1 .LBB39_73
; %bb.69:                               ;   in Loop: Header=BB39_68 Depth=1
	v_lshl_add_u64 v[20:21], v[16:17], 2, s[12:13]
	global_load_dword v43, v[20:21], off sc1
	s_waitcnt vmcnt(0)
	v_lshrrev_b32_e32 v28, 16, v43
	v_cmp_eq_u16_sdwa s[8:9], v28, v17 src0_sel:BYTE_0 src1_sel:DWORD
	s_and_saveexec_b64 s[6:7], s[8:9]
	s_cbranch_execz .LBB39_67
; %bb.70:                               ;   in Loop: Header=BB39_68 Depth=1
	s_mov_b64 s[8:9], 0
.LBB39_71:                              ;   Parent Loop BB39_68 Depth=1
                                        ; =>  This Inner Loop Header: Depth=2
	global_load_dword v43, v[20:21], off sc1
	s_waitcnt vmcnt(0)
	v_lshrrev_b32_e32 v28, 16, v43
	v_cmp_ne_u16_sdwa s[10:11], v28, v17 src0_sel:BYTE_0 src1_sel:DWORD
	s_or_b64 s[8:9], s[10:11], s[8:9]
	s_andn2_b64 exec, exec, s[8:9]
	s_cbranch_execnz .LBB39_71
; %bb.72:                               ;   in Loop: Header=BB39_68 Depth=1
	s_or_b64 exec, exec, s[8:9]
	s_branch .LBB39_67
.LBB39_73:                              ;   in Loop: Header=BB39_68 Depth=1
                                        ; implicit-def: $vgpr20
                                        ; implicit-def: $vgpr28
	s_cbranch_execz .LBB39_68
; %bb.74:
	s_and_saveexec_b64 s[6:7], s[4:5]
	s_cbranch_execz .LBB39_76
; %bb.75:
	s_add_i32 s2, s2, 64
	s_mov_b32 s3, 0
	s_lshl_b64 s[2:3], s[2:3], 2
	s_add_u32 s2, s12, s2
	v_mul_lo_u16_e32 v17, v40, v27
	s_addc_u32 s3, s13, s3
	v_mov_b32_e32 v16, 0
	v_or_b32_e32 v17, 0x20000, v17
	global_store_dword v16, v17, s[2:3] sc1
.LBB39_76:
	s_or_b64 exec, exec, s[6:7]
	v_cmp_eq_u32_e32 vcc, 0, v0
	s_and_b64 exec, exec, vcc
	s_cbranch_execz .LBB39_78
; %bb.77:
	v_mov_b32_e32 v16, 0
	ds_write_b16 v16, v40 offset:6
.LBB39_78:
	s_or_b64 exec, exec, s[20:21]
	v_mov_b32_e32 v16, 0
	s_waitcnt lgkmcnt(0)
	s_barrier
	ds_read_u16 v16, v16 offset:6
	v_cndmask_b32_e64 v17, v26, v25, s[4:5]
	v_cmp_ne_u32_e32 vcc, 0, v0
	s_nop 1
	v_cndmask_b32_e32 v17, 1, v17, vcc
	v_mul_lo_u16_e32 v17, v17, v10
	s_waitcnt lgkmcnt(0)
	v_mul_lo_u16_e32 v16, v17, v16
	s_load_dwordx4 s[4:7], s[0:1], 0x30
	s_branch .LBB39_91
.LBB39_79:
                                        ; implicit-def: $vgpr16
	s_load_dwordx4 s[4:7], s[0:1], 0x30
	s_cbranch_execz .LBB39_91
; %bb.80:
	s_load_dword s2, s[0:1], 0x40
	v_cmp_eq_u32_e32 vcc, 0, v0
	v_mov_b32_e32 v16, v10
	s_waitcnt lgkmcnt(0)
	s_bitcmp1_b32 s2, 0
	s_cselect_b64 s[2:3], -1, 0
	s_and_b64 s[8:9], vcc, s[2:3]
	s_and_saveexec_b64 s[2:3], s[8:9]
	s_cbranch_execz .LBB39_82
; %bb.81:
	v_mov_b32_e32 v16, 0
	global_load_ushort v16, v16, s[4:5]
	s_waitcnt vmcnt(0)
	v_mul_lo_u16_e32 v16, v16, v10
.LBB39_82:
	s_or_b64 exec, exec, s[2:3]
	v_mul_lo_u16_sdwa v17, v11, v10 dst_sel:DWORD dst_unused:UNUSED_PAD src0_sel:DWORD src1_sel:WORD_1
	v_mul_lo_u16_sdwa v17, v17, v11 dst_sel:DWORD dst_unused:UNUSED_PAD src0_sel:DWORD src1_sel:WORD_1
	v_mul_lo_u16_e32 v17, v17, v12
	v_mul_lo_u16_sdwa v17, v17, v12 dst_sel:DWORD dst_unused:UNUSED_PAD src0_sel:DWORD src1_sel:WORD_1
	v_mul_lo_u16_e32 v17, v17, v13
	;; [unrolled: 2-line block ×11, first 2 shown]
	v_mbcnt_hi_u32_b32 v17, -1, v24
	v_and_b32_e32 v19, 15, v17
	v_mov_b32_dpp v20, v18 row_shr:1 row_mask:0xf bank_mask:0xf
	v_mul_lo_u16_e32 v20, v18, v20
	v_cmp_eq_u32_e64 s[2:3], 0, v19
	s_nop 1
	v_cndmask_b32_e64 v18, v20, v18, s[2:3]
	v_cmp_lt_u32_e64 s[2:3], 1, v19
	s_nop 0
	v_mov_b32_dpp v20, v18 row_shr:2 row_mask:0xf bank_mask:0xf
	v_mul_lo_u16_e32 v20, v18, v20
	v_cndmask_b32_e64 v18, v18, v20, s[2:3]
	v_cmp_lt_u32_e64 s[2:3], 3, v19
	s_nop 0
	v_mov_b32_dpp v20, v18 row_shr:4 row_mask:0xf bank_mask:0xf
	v_mul_lo_u16_e32 v20, v18, v20
	;; [unrolled: 5-line block ×3, first 2 shown]
	v_cndmask_b32_e64 v18, v18, v20, s[2:3]
	v_and_b32_e32 v20, 16, v17
	v_cmp_eq_u32_e64 s[2:3], 0, v20
	v_mov_b32_dpp v19, v18 row_bcast:15 row_mask:0xf bank_mask:0xf
	v_mul_lo_u16_e32 v19, v18, v19
	v_cndmask_b32_e64 v18, v19, v18, s[2:3]
	v_cmp_lt_u32_e64 s[2:3], 31, v17
	s_nop 0
	v_mov_b32_dpp v19, v18 row_bcast:31 row_mask:0xf bank_mask:0xf
	v_cndmask_b32_e64 v19, 1, v19, s[2:3]
	v_mul_lo_u16_e32 v18, v18, v19
	v_cmp_eq_u32_e64 s[2:3], v23, v0
	s_and_saveexec_b64 s[4:5], s[2:3]
	s_cbranch_execz .LBB39_84
; %bb.83:
	v_lshlrev_b32_e32 v19, 1, v15
	ds_write_b16 v19, v18
.LBB39_84:
	s_or_b64 exec, exec, s[4:5]
	v_cmp_gt_u32_e64 s[2:3], 4, v0
	s_waitcnt lgkmcnt(0)
	s_barrier
	s_and_saveexec_b64 s[4:5], s[2:3]
	s_cbranch_execz .LBB39_86
; %bb.85:
	ds_read_u16 v19, v14
	v_and_b32_e32 v20, 3, v17
	v_cmp_eq_u32_e64 s[2:3], 0, v20
	s_waitcnt lgkmcnt(0)
	v_and_b32_e32 v21, 0xffff, v19
	s_nop 1
	v_mov_b32_dpp v23, v21 row_shr:1 row_mask:0xf bank_mask:0xf
	v_mul_lo_u16_e32 v23, v19, v23
	v_cndmask_b32_e64 v21, v23, v21, s[2:3]
	v_cndmask_b32_e64 v19, v23, v19, s[2:3]
	v_cmp_lt_u32_e64 s[2:3], 1, v20
	v_mov_b32_dpp v21, v21 row_shr:2 row_mask:0xf bank_mask:0xf
	s_nop 0
	v_cndmask_b32_e64 v20, 1, v21, s[2:3]
	v_mul_lo_u16_e32 v19, v19, v20
	ds_write_b16 v14, v19
.LBB39_86:
	s_or_b64 exec, exec, s[4:5]
	v_cmp_lt_u32_e64 s[2:3], 63, v0
	s_waitcnt lgkmcnt(0)
	s_barrier
	s_waitcnt lgkmcnt(0)
                                        ; implicit-def: $vgpr19
	s_and_saveexec_b64 s[4:5], s[2:3]
	s_cbranch_execz .LBB39_88
; %bb.87:
	v_lshl_add_u32 v15, v15, 1, -2
	ds_read_u16 v19, v15
	s_waitcnt lgkmcnt(0)
	v_mul_lo_u16_e32 v18, v19, v18
.LBB39_88:
	s_or_b64 exec, exec, s[4:5]
	v_and_b32_e32 v15, 0xffff, v18
	v_add_u32_e32 v18, -1, v17
	v_and_b32_e32 v20, 64, v17
	v_cmp_lt_i32_e64 s[2:3], v18, v20
	s_nop 1
	v_cndmask_b32_e64 v18, v18, v17, s[2:3]
	v_lshlrev_b32_e32 v18, 2, v18
	ds_bpermute_b32 v15, v18, v15
	v_cmp_eq_u32_e64 s[2:3], 0, v17
	s_waitcnt lgkmcnt(0)
	s_nop 0
	v_cndmask_b32_e64 v15, v15, v19, s[2:3]
	v_cndmask_b32_e64 v15, v15, 1, vcc
	s_and_saveexec_b64 s[2:3], vcc
	s_cbranch_execz .LBB39_90
; %bb.89:
	v_mov_b32_e32 v17, 0
	ds_read_u16 v18, v17 offset:6
	s_waitcnt lgkmcnt(0)
	v_or_b32_e32 v18, 0x20000, v18
	global_store_dword v17, v18, s[12:13] offset:256 sc1
.LBB39_90:
	s_or_b64 exec, exec, s[2:3]
	v_mul_lo_u16_e32 v16, v15, v16
.LBB39_91:
	v_mul_lo_u16_sdwa v17, v16, v10 dst_sel:DWORD dst_unused:UNUSED_PAD src0_sel:DWORD src1_sel:WORD_1
	v_mul_lo_u16_e32 v18, v17, v11
	v_mul_lo_u16_sdwa v19, v18, v11 dst_sel:DWORD dst_unused:UNUSED_PAD src0_sel:DWORD src1_sel:WORD_1
	v_mul_lo_u16_e32 v21, v19, v12
	;; [unrolled: 2-line block ×11, first 2 shown]
	s_add_u32 s2, s14, s18
	v_mul_lo_u16_sdwa v5, v9, v5 dst_sel:DWORD dst_unused:UNUSED_PAD src0_sel:DWORD src1_sel:WORD_1
	s_addc_u32 s3, s15, s19
	s_waitcnt lgkmcnt(0)
	s_mov_b64 s[4:5], -1
	s_and_b64 vcc, exec, s[16:17]
	s_barrier
	s_cbranch_vccz .LBB39_93
; %bb.92:
	s_mov_b32 s4, 0x5040100
	v_perm_b32 v33, v28, v26, s4
	v_perm_b32 v32, v24, v21, s4
	;; [unrolled: 1-line block ×4, first 2 shown]
	ds_write_b128 v1, v[30:33]
	v_perm_b32 v33, v27, v25, s4
	v_perm_b32 v32, v23, v20, s4
	;; [unrolled: 1-line block ×4, first 2 shown]
	ds_write_b128 v1, v[30:33] offset:16
	v_perm_b32 v33, v5, v9, s4
	v_perm_b32 v32, v4, v8, s4
	;; [unrolled: 1-line block ×4, first 2 shown]
	v_mov_b32_e32 v15, 0
	ds_write_b128 v1, v[30:33] offset:32
	s_waitcnt lgkmcnt(0)
	s_barrier
	ds_read_u16 v29, v14
	ds_read_u16 v32, v14 offset:512
	ds_read_u16 v33, v14 offset:1024
	;; [unrolled: 1-line block ×23, first 2 shown]
	v_lshl_add_u64 v[30:31], s[2:3], 0, v[14:15]
	s_movk_i32 s4, 0x1000
	s_waitcnt lgkmcnt(14)
	global_store_short v14, v29, s[2:3]
	global_store_short v14, v32, s[2:3] offset:512
	global_store_short v14, v33, s[2:3] offset:1024
	;; [unrolled: 1-line block ×7, first 2 shown]
	v_add_co_u32_e32 v32, vcc, s4, v30
	s_mov_b64 s[4:5], 0
	s_nop 0
	v_addc_co_u32_e32 v33, vcc, 0, v31, vcc
	v_add_co_u32_e32 v30, vcc, 0x2000, v30
	global_store_short v[32:33], v39, off
	global_store_short v[32:33], v40, off offset:512
	s_waitcnt lgkmcnt(13)
	global_store_short v[32:33], v41, off offset:1024
	s_waitcnt lgkmcnt(12)
	;; [unrolled: 2-line block ×6, first 2 shown]
	global_store_short v[32:33], v46, off offset:3584
	v_addc_co_u32_e32 v31, vcc, 0, v31, vcc
	s_waitcnt lgkmcnt(7)
	global_store_short v[30:31], v47, off
	s_waitcnt lgkmcnt(6)
	global_store_short v[30:31], v48, off offset:512
	s_waitcnt lgkmcnt(5)
	global_store_short v[30:31], v49, off offset:1024
	;; [unrolled: 2-line block ×7, first 2 shown]
.LBB39_93:
	s_andn2_b64 vcc, exec, s[4:5]
	s_cbranch_vccnz .LBB39_150
; %bb.94:
	s_mov_b32 s4, 0x5040100
	v_perm_b32 v31, v28, v26, s4
	v_perm_b32 v30, v24, v21, s4
	;; [unrolled: 1-line block ×12, first 2 shown]
	ds_write_b128 v1, v[28:31]
	ds_write_b128 v1, v[16:19] offset:16
	ds_write_b128 v1, v[2:5] offset:32
	s_waitcnt lgkmcnt(0)
	s_barrier
	ds_read_u16 v5, v14
	ds_read_u16 v4, v14 offset:512
	ds_read_u16 v7, v14 offset:1024
	;; [unrolled: 1-line block ×23, first 2 shown]
	v_mov_b32_e32 v15, 0
	v_lshl_add_u64 v[2:3], s[2:3], 0, v[14:15]
	v_cmp_gt_u32_e32 vcc, s22, v0
	s_and_saveexec_b64 s[2:3], vcc
	s_cbranch_execz .LBB39_96
; %bb.95:
	s_waitcnt lgkmcnt(14)
	global_store_short v[2:3], v5, off
.LBB39_96:
	s_or_b64 exec, exec, s[2:3]
	v_or_b32_e32 v1, 0x100, v0
	v_cmp_gt_u32_e32 vcc, s22, v1
	s_and_saveexec_b64 s[2:3], vcc
	s_cbranch_execz .LBB39_98
; %bb.97:
	s_waitcnt lgkmcnt(14)
	global_store_short v[2:3], v4, off offset:512
.LBB39_98:
	s_or_b64 exec, exec, s[2:3]
	v_or_b32_e32 v1, 0x200, v0
	v_cmp_gt_u32_e32 vcc, s22, v1
	s_and_saveexec_b64 s[2:3], vcc
	s_cbranch_execz .LBB39_100
; %bb.99:
	s_waitcnt lgkmcnt(14)
	global_store_short v[2:3], v7, off offset:1024
.LBB39_100:
	;; [unrolled: 9-line block ×7, first 2 shown]
	s_or_b64 exec, exec, s[2:3]
	v_or_b32_e32 v1, 0x800, v0
	v_cmp_gt_u32_e32 vcc, s22, v1
	s_and_saveexec_b64 s[2:3], vcc
	s_cbranch_execz .LBB39_112
; %bb.111:
	v_add_co_u32_e32 v32, vcc, 0x1000, v2
	s_nop 1
	v_addc_co_u32_e32 v33, vcc, 0, v3, vcc
	s_waitcnt lgkmcnt(14)
	global_store_short v[32:33], v18, off
.LBB39_112:
	s_or_b64 exec, exec, s[2:3]
	v_or_b32_e32 v1, 0x900, v0
	v_cmp_gt_u32_e32 vcc, s22, v1
	s_and_saveexec_b64 s[2:3], vcc
	s_cbranch_execz .LBB39_114
; %bb.113:
	v_add_co_u32_e32 v32, vcc, 0x1000, v2
	s_nop 1
	v_addc_co_u32_e32 v33, vcc, 0, v3, vcc
	s_waitcnt lgkmcnt(14)
	global_store_short v[32:33], v26, off offset:512
.LBB39_114:
	s_or_b64 exec, exec, s[2:3]
	v_or_b32_e32 v1, 0xa00, v0
	v_cmp_gt_u32_e32 vcc, s22, v1
	s_and_saveexec_b64 s[2:3], vcc
	s_cbranch_execz .LBB39_116
; %bb.115:
	v_add_co_u32_e32 v32, vcc, 0x1000, v2
	s_nop 1
	v_addc_co_u32_e32 v33, vcc, 0, v3, vcc
	s_waitcnt lgkmcnt(13)
	global_store_short v[32:33], v23, off offset:1024
.LBB39_116:
	;; [unrolled: 12-line block ×7, first 2 shown]
	s_or_b64 exec, exec, s[2:3]
	v_or_b32_e32 v1, 0x1000, v0
	v_cmp_gt_u32_e32 vcc, s22, v1
	s_and_saveexec_b64 s[2:3], vcc
	s_cbranch_execz .LBB39_128
; %bb.127:
	v_add_co_u32_e32 v32, vcc, 0x2000, v2
	s_nop 1
	v_addc_co_u32_e32 v33, vcc, 0, v3, vcc
	s_waitcnt lgkmcnt(7)
	global_store_short v[32:33], v25, off
.LBB39_128:
	s_or_b64 exec, exec, s[2:3]
	v_or_b32_e32 v1, 0x1100, v0
	v_cmp_gt_u32_e32 vcc, s22, v1
	s_and_saveexec_b64 s[2:3], vcc
	s_cbranch_execz .LBB39_130
; %bb.129:
	v_add_co_u32_e32 v32, vcc, 0x2000, v2
	s_nop 1
	v_addc_co_u32_e32 v33, vcc, 0, v3, vcc
	s_waitcnt lgkmcnt(6)
	global_store_short v[32:33], v28, off offset:512
.LBB39_130:
	s_or_b64 exec, exec, s[2:3]
	v_or_b32_e32 v1, 0x1200, v0
	v_cmp_gt_u32_e32 vcc, s22, v1
	s_and_saveexec_b64 s[2:3], vcc
	s_cbranch_execz .LBB39_132
; %bb.131:
	v_add_co_u32_e32 v32, vcc, 0x2000, v2
	s_nop 1
	v_addc_co_u32_e32 v33, vcc, 0, v3, vcc
	s_waitcnt lgkmcnt(5)
	global_store_short v[32:33], v27, off offset:1024
.LBB39_132:
	;; [unrolled: 12-line block ×7, first 2 shown]
	s_or_b64 exec, exec, s[2:3]
	s_load_dword s0, s[0:1], 0x40
	s_waitcnt lgkmcnt(0)
	s_bfe_u32 s0, s0, 0x10008
	s_cmp_eq_u32 s0, 0
	s_cbranch_scc1 .LBB39_150
; %bb.143:
	s_add_u32 s0, s22, -1
	s_addc_u32 s1, s23, -1
	s_add_u32 s2, 0, 0xaaaa0000
	s_addc_u32 s3, 0, 42
	s_add_i32 s3, s3, 0xaaaaa80
	s_mul_hi_u32 s9, s2, 0xffffffe8
	s_sub_i32 s9, s9, s2
	s_mul_i32 s10, s3, 0xffffffe8
	s_mul_i32 s4, s2, 0xffffffe8
	s_add_i32 s9, s9, s10
	s_mul_hi_u32 s5, s3, s4
	s_mul_i32 s8, s3, s4
	s_mul_i32 s11, s2, s9
	s_mul_hi_u32 s4, s2, s4
	s_mul_hi_u32 s10, s2, s9
	s_add_u32 s4, s4, s11
	s_addc_u32 s10, 0, s10
	s_add_u32 s4, s4, s8
	s_mul_hi_u32 s11, s3, s9
	s_addc_u32 s4, s10, s5
	s_addc_u32 s5, s11, 0
	s_mul_i32 s8, s3, s9
	s_add_u32 s4, s4, s8
	v_mov_b32_e32 v2, s4
	s_addc_u32 s5, 0, s5
	v_add_co_u32_e32 v2, vcc, s2, v2
	s_cmp_lg_u64 vcc, 0
	s_addc_u32 s2, s3, s5
	v_readfirstlane_b32 s5, v2
	s_mul_i32 s4, s0, s2
	s_mul_hi_u32 s8, s0, s5
	s_mul_hi_u32 s3, s0, s2
	s_add_u32 s4, s8, s4
	s_addc_u32 s3, 0, s3
	s_mul_hi_u32 s9, s1, s5
	s_mul_i32 s5, s1, s5
	s_add_u32 s4, s4, s5
	s_mul_hi_u32 s8, s1, s2
	s_addc_u32 s3, s3, s9
	s_addc_u32 s4, s8, 0
	s_mul_i32 s2, s1, s2
	s_add_u32 s2, s3, s2
	s_addc_u32 s3, 0, s4
	s_add_u32 s4, s2, 1
	s_addc_u32 s5, s3, 0
	s_add_u32 s8, s2, 2
	s_mul_i32 s10, s3, 24
	s_mul_hi_u32 s11, s2, 24
	s_addc_u32 s9, s3, 0
	s_add_i32 s11, s11, s10
	s_mul_i32 s10, s2, 24
	v_mov_b32_e32 v2, s10
	v_sub_co_u32_e32 v2, vcc, s0, v2
	s_cmp_lg_u64 vcc, 0
	s_subb_u32 s10, s1, s11
	v_subrev_co_u32_e32 v3, vcc, 24, v2
	s_cmp_lg_u64 vcc, 0
	s_subb_u32 s11, s10, 0
	v_readfirstlane_b32 s12, v3
	s_cmp_gt_u32 s12, 23
	s_cselect_b32 s12, -1, 0
	s_cmp_eq_u32 s11, 0
	s_cselect_b32 s11, s12, -1
	s_cmp_lg_u32 s11, 0
	s_cselect_b32 s4, s8, s4
	v_readfirstlane_b32 s8, v2
	s_cselect_b32 s5, s9, s5
	s_cmp_gt_u32 s8, 23
	s_cselect_b32 s8, -1, 0
	s_cmp_eq_u32 s10, 0
	s_cselect_b32 s8, s8, -1
	s_cmp_lg_u32 s8, 0
	v_mov_b32_e32 v1, v15
	s_cselect_b32 s3, s5, s3
	s_cselect_b32 s2, s4, s2
	v_cmp_eq_u64_e32 vcc, s[2:3], v[0:1]
	s_and_saveexec_b64 s[2:3], vcc
	s_cbranch_execz .LBB39_150
; %bb.144:
	v_mul_hi_u32_u24_e32 v1, 24, v0
	v_mov_b32_e32 v2, s1
	v_sub_co_u32_e32 v0, vcc, s0, v22
	s_mov_b64 s[0:1], 0
	s_nop 0
	v_subb_co_u32_e32 v1, vcc, v2, v1, vcc
	v_cmp_lt_i64_e32 vcc, 11, v[0:1]
	s_mov_b64 s[10:11], 0
	s_mov_b64 s[8:9], 0
	s_mov_b64 s[4:5], 0
	s_and_saveexec_b64 s[2:3], vcc
	s_xor_b64 s[2:3], exec, s[2:3]
	s_cbranch_execnz .LBB39_151
; %bb.145:
	s_andn2_saveexec_b64 s[2:3], s[2:3]
	s_cbranch_execnz .LBB39_196
.LBB39_146:
	s_or_b64 exec, exec, s[2:3]
	s_and_saveexec_b64 s[2:3], s[10:11]
	s_cbranch_execnz .LBB39_213
.LBB39_147:
	s_or_b64 exec, exec, s[2:3]
	s_and_saveexec_b64 s[2:3], s[8:9]
	s_cbranch_execnz .LBB39_214
.LBB39_148:
	s_or_b64 exec, exec, s[2:3]
	s_and_saveexec_b64 s[2:3], s[4:5]
	s_xor_b64 s[2:3], exec, s[2:3]
	s_cbranch_execnz .LBB39_215
.LBB39_149:
	s_or_b64 exec, exec, s[2:3]
	s_and_b64 exec, exec, s[0:1]
	s_cbranch_execnz .LBB39_216
.LBB39_150:
	s_endpgm
.LBB39_151:
	v_cmp_lt_i64_e32 vcc, 17, v[0:1]
	s_and_saveexec_b64 s[12:13], vcc
	s_xor_b64 s[12:13], exec, s[12:13]
	s_cbranch_execz .LBB39_173
; %bb.152:
	v_cmp_lt_i64_e32 vcc, 20, v[0:1]
                                        ; implicit-def: $vgpr10
	s_and_saveexec_b64 s[14:15], vcc
	s_xor_b64 s[14:15], exec, s[14:15]
	s_cbranch_execz .LBB39_162
; %bb.153:
	v_cmp_lt_i64_e32 vcc, 21, v[0:1]
	s_mov_b64 s[16:17], 0
                                        ; implicit-def: $vgpr10
	s_and_saveexec_b64 s[4:5], vcc
	s_xor_b64 s[4:5], exec, s[4:5]
	s_cbranch_execz .LBB39_159
; %bb.154:
	v_cmp_lt_i64_e32 vcc, 22, v[0:1]
	s_and_saveexec_b64 s[16:17], vcc
	s_xor_b64 s[16:17], exec, s[16:17]
	s_cbranch_execz .LBB39_156
; %bb.155:
	v_mov_b32_e32 v2, 0
	global_store_short v2, v30, s[6:7]
                                        ; implicit-def: $vgpr29
.LBB39_156:
	s_or_saveexec_b64 s[16:17], s[16:17]
	s_mov_b64 s[18:19], 0
	s_xor_b64 exec, exec, s[16:17]
; %bb.157:
	s_mov_b64 s[18:19], exec
; %bb.158:
	s_or_b64 exec, exec, s[16:17]
	s_and_b64 s[16:17], s[18:19], exec
	v_mov_b32_e32 v10, v29
                                        ; implicit-def: $vgpr11
.LBB39_159:
	s_andn2_saveexec_b64 s[4:5], s[4:5]
; %bb.160:
	s_mov_b64 s[8:9], exec
                                        ; implicit-def: $vgpr10
; %bb.161:
	s_or_b64 exec, exec, s[4:5]
	s_and_b64 s[4:5], s[16:17], exec
	s_and_b64 s[8:9], s[8:9], exec
                                        ; implicit-def: $vgpr27
                                        ; implicit-def: $vgpr12
                                        ; implicit-def: $vgpr24
.LBB39_162:
	s_andn2_saveexec_b64 s[14:15], s[14:15]
	s_cbranch_execz .LBB39_172
; %bb.163:
	v_cmp_lt_i64_e32 vcc, 18, v[0:1]
	s_mov_b64 s[16:17], 0
	s_and_saveexec_b64 s[10:11], vcc
	s_xor_b64 s[10:11], exec, s[10:11]
	s_cbranch_execz .LBB39_169
; %bb.164:
	v_cmp_lt_i64_e32 vcc, 19, v[0:1]
	s_and_saveexec_b64 s[18:19], vcc
	s_xor_b64 s[18:19], exec, s[18:19]
; %bb.165:
	s_mov_b64 s[16:17], exec
                                        ; implicit-def: $vgpr24
; %bb.166:
	s_andn2_saveexec_b64 s[18:19], s[18:19]
	s_cbranch_execz .LBB39_168
; %bb.167:
	v_mov_b32_e32 v2, 0
	global_store_short v2, v24, s[6:7]
                                        ; implicit-def: $vgpr12
.LBB39_168:
	s_or_b64 exec, exec, s[18:19]
	s_and_b64 s[16:17], s[16:17], exec
                                        ; implicit-def: $vgpr27
.LBB39_169:
	s_andn2_saveexec_b64 s[10:11], s[10:11]
	s_cbranch_execz .LBB39_171
; %bb.170:
	v_mov_b32_e32 v2, 0
	global_store_short v2, v27, s[6:7]
                                        ; implicit-def: $vgpr12
.LBB39_171:
	s_or_b64 exec, exec, s[10:11]
	s_and_b64 s[10:11], s[16:17], exec
                                        ; implicit-def: $vgpr10
                                        ; implicit-def: $vgpr11
.LBB39_172:
	s_or_b64 exec, exec, s[14:15]
	s_and_b64 s[4:5], s[4:5], exec
	s_and_b64 s[8:9], s[8:9], exec
	s_and_b64 s[10:11], s[10:11], exec
                                        ; implicit-def: $vgpr20
                                        ; implicit-def: $vgpr13
                                        ; implicit-def: $vgpr16
                                        ; implicit-def: $vgpr25
                                        ; implicit-def: $vgpr28
.LBB39_173:
	s_andn2_saveexec_b64 s[12:13], s[12:13]
	s_cbranch_execz .LBB39_195
; %bb.174:
	v_cmp_lt_i64_e32 vcc, 14, v[0:1]
	s_mov_b64 s[14:15], s[4:5]
	s_and_saveexec_b64 s[16:17], vcc
	s_xor_b64 s[16:17], exec, s[16:17]
	s_cbranch_execz .LBB39_184
; %bb.175:
	v_cmp_lt_i64_e32 vcc, 15, v[0:1]
	s_and_saveexec_b64 s[14:15], vcc
	s_xor_b64 s[14:15], exec, s[14:15]
	s_cbranch_execz .LBB39_181
; %bb.176:
	v_cmp_lt_i64_e32 vcc, 16, v[0:1]
	s_and_saveexec_b64 s[18:19], vcc
	s_xor_b64 s[18:19], exec, s[18:19]
	s_cbranch_execz .LBB39_178
; %bb.177:
	v_mov_b32_e32 v2, 0
	global_store_short v2, v28, s[6:7]
                                        ; implicit-def: $vgpr25
.LBB39_178:
	s_andn2_saveexec_b64 s[18:19], s[18:19]
	s_cbranch_execz .LBB39_180
; %bb.179:
	v_mov_b32_e32 v2, 0
	global_store_short v2, v25, s[6:7]
.LBB39_180:
	s_or_b64 exec, exec, s[18:19]
                                        ; implicit-def: $vgpr10
.LBB39_181:
	s_or_saveexec_b64 s[14:15], s[14:15]
	s_mov_b64 s[18:19], s[4:5]
	s_xor_b64 exec, exec, s[14:15]
; %bb.182:
	s_or_b64 s[18:19], s[4:5], exec
; %bb.183:
	s_or_b64 exec, exec, s[14:15]
	s_andn2_b64 s[14:15], s[4:5], exec
	s_and_b64 s[18:19], s[18:19], exec
	s_or_b64 s[14:15], s[14:15], s[18:19]
                                        ; implicit-def: $vgpr20
                                        ; implicit-def: $vgpr13
                                        ; implicit-def: $vgpr16
.LBB39_184:
	s_or_saveexec_b64 s[16:17], s[16:17]
	s_mov_b64 s[18:19], s[8:9]
                                        ; implicit-def: $vgpr11
	s_xor_b64 exec, exec, s[16:17]
	s_cbranch_execz .LBB39_194
; %bb.185:
	v_cmp_lt_i64_e32 vcc, 12, v[0:1]
	s_mov_b64 s[20:21], s[8:9]
	s_mov_b64 s[22:23], s[14:15]
                                        ; implicit-def: $vgpr10
                                        ; implicit-def: $vgpr11
	s_and_saveexec_b64 s[18:19], vcc
	s_xor_b64 s[18:19], exec, s[18:19]
	s_cbranch_execz .LBB39_191
; %bb.186:
	v_cmp_lt_i64_e32 vcc, 13, v[0:1]
	s_mov_b64 s[20:21], s[14:15]
	s_and_saveexec_b64 s[22:23], vcc
	s_xor_b64 s[22:23], exec, s[22:23]
; %bb.187:
	s_or_b64 s[20:21], s[14:15], exec
                                        ; implicit-def: $vgpr13
; %bb.188:
	s_or_saveexec_b64 s[22:23], s[22:23]
	s_mov_b64 s[24:25], s[8:9]
	s_xor_b64 exec, exec, s[22:23]
; %bb.189:
	s_or_b64 s[24:25], s[8:9], exec
                                        ; implicit-def: $vgpr16
; %bb.190:
	s_or_b64 exec, exec, s[22:23]
	s_andn2_b64 s[22:23], s[14:15], exec
	s_and_b64 s[20:21], s[20:21], exec
	s_or_b64 s[22:23], s[22:23], s[20:21]
	s_andn2_b64 s[20:21], s[8:9], exec
	s_and_b64 s[24:25], s[24:25], exec
	s_or_b64 s[20:21], s[20:21], s[24:25]
	v_mov_b32_e32 v10, v16
	v_mov_b32_e32 v11, v13
                                        ; implicit-def: $vgpr20
.LBB39_191:
	s_andn2_saveexec_b64 s[18:19], s[18:19]
; %bb.192:
	s_or_b64 s[20:21], s[20:21], exec
                                        ; implicit-def: $vgpr10
	v_mov_b32_e32 v11, v20
; %bb.193:
	s_or_b64 exec, exec, s[18:19]
	s_andn2_b64 s[14:15], s[14:15], exec
	s_and_b64 s[18:19], s[22:23], exec
	s_or_b64 s[14:15], s[14:15], s[18:19]
	s_andn2_b64 s[18:19], s[8:9], exec
	s_and_b64 s[20:21], s[20:21], exec
	s_or_b64 s[18:19], s[18:19], s[20:21]
.LBB39_194:
	s_or_b64 exec, exec, s[16:17]
	s_andn2_b64 s[4:5], s[4:5], exec
	s_and_b64 s[14:15], s[14:15], exec
	s_or_b64 s[4:5], s[4:5], s[14:15]
	s_andn2_b64 s[8:9], s[8:9], exec
	s_and_b64 s[14:15], s[18:19], exec
	s_or_b64 s[8:9], s[8:9], s[14:15]
                                        ; implicit-def: $vgpr12
.LBB39_195:
	s_or_b64 exec, exec, s[12:13]
	s_and_b64 s[4:5], s[4:5], exec
	s_and_b64 s[8:9], s[8:9], exec
	;; [unrolled: 1-line block ×3, first 2 shown]
                                        ; implicit-def: $vgpr19
                                        ; implicit-def: $vgpr17
                                        ; implicit-def: $vgpr18
                                        ; implicit-def: $vgpr26
                                        ; implicit-def: $vgpr23
                                        ; implicit-def: $vgpr21
	s_andn2_saveexec_b64 s[2:3], s[2:3]
	s_cbranch_execz .LBB39_146
.LBB39_196:
	v_cmp_lt_i64_e32 vcc, 5, v[0:1]
	s_mov_b64 s[14:15], -1
	s_mov_b64 s[12:13], s[10:11]
	s_mov_b64 s[16:17], s[8:9]
	;; [unrolled: 1-line block ×3, first 2 shown]
                                        ; implicit-def: $vgpr10
                                        ; implicit-def: $vgpr11
                                        ; implicit-def: $vgpr12
	s_and_saveexec_b64 s[0:1], vcc
	s_cbranch_execz .LBB39_212
; %bb.197:
	v_cmp_lt_i64_e32 vcc, 8, v[0:1]
	s_mov_b64 s[12:13], s[10:11]
                                        ; implicit-def: $vgpr12
	s_and_saveexec_b64 s[14:15], vcc
	s_xor_b64 s[14:15], exec, s[14:15]
	s_cbranch_execz .LBB39_207
; %bb.198:
	v_cmp_lt_i64_e32 vcc, 9, v[0:1]
	s_and_saveexec_b64 s[12:13], vcc
	s_xor_b64 s[12:13], exec, s[12:13]
	s_cbranch_execz .LBB39_204
; %bb.199:
	v_cmp_lt_i64_e32 vcc, 10, v[0:1]
	s_and_saveexec_b64 s[16:17], vcc
	s_xor_b64 s[16:17], exec, s[16:17]
; %bb.200:
                                        ; implicit-def: $vgpr23
; %bb.201:
	s_andn2_saveexec_b64 s[16:17], s[16:17]
; %bb.202:
	v_mov_b32_e32 v21, v23
; %bb.203:
	s_or_b64 exec, exec, s[16:17]
                                        ; implicit-def: $vgpr26
.LBB39_204:
	s_andn2_saveexec_b64 s[12:13], s[12:13]
; %bb.205:
	v_mov_b32_e32 v21, v26
; %bb.206:
	s_or_b64 exec, exec, s[12:13]
	s_or_b64 s[12:13], s[10:11], exec
	v_mov_b32_e32 v12, v21
                                        ; implicit-def: $vgpr19
                                        ; implicit-def: $vgpr17
                                        ; implicit-def: $vgpr18
.LBB39_207:
	s_or_saveexec_b64 s[14:15], s[14:15]
	s_mov_b64 s[16:17], s[8:9]
	s_mov_b64 s[20:21], s[4:5]
                                        ; implicit-def: $vgpr10
                                        ; implicit-def: $vgpr11
	s_xor_b64 exec, exec, s[14:15]
	s_cbranch_execz .LBB39_211
; %bb.208:
	v_cmp_lt_i64_e32 vcc, 6, v[0:1]
	s_mov_b64 s[20:21], -1
	s_mov_b64 s[18:19], s[12:13]
	s_mov_b64 s[16:17], s[8:9]
	s_and_saveexec_b64 s[22:23], vcc
; %bb.209:
	v_cmp_lt_i64_e32 vcc, 7, v[0:1]
	s_andn2_b64 s[18:19], s[12:13], exec
	s_and_b64 s[24:25], vcc, exec
	s_xor_b64 s[20:21], exec, -1
	s_or_b64 s[16:17], s[8:9], exec
	s_or_b64 s[18:19], s[18:19], s[24:25]
                                        ; implicit-def: $vgpr19
; %bb.210:
	s_or_b64 exec, exec, s[22:23]
	s_andn2_b64 s[22:23], s[4:5], exec
	s_and_b64 s[20:21], s[20:21], exec
	s_or_b64 s[20:21], s[22:23], s[20:21]
	s_andn2_b64 s[22:23], s[8:9], exec
	s_and_b64 s[16:17], s[16:17], exec
	s_andn2_b64 s[12:13], s[12:13], exec
	s_and_b64 s[18:19], s[18:19], exec
	s_or_b64 s[16:17], s[22:23], s[16:17]
	s_or_b64 s[12:13], s[12:13], s[18:19]
	v_mov_b32_e32 v10, v19
	v_mov_b32_e32 v11, v17
	;; [unrolled: 1-line block ×3, first 2 shown]
.LBB39_211:
	s_or_b64 exec, exec, s[14:15]
	s_andn2_b64 s[18:19], s[4:5], exec
	s_and_b64 s[20:21], s[20:21], exec
	s_or_b64 s[18:19], s[18:19], s[20:21]
	s_andn2_b64 s[20:21], s[8:9], exec
	s_and_b64 s[16:17], s[16:17], exec
	s_or_b64 s[16:17], s[20:21], s[16:17]
	s_andn2_b64 s[20:21], s[10:11], exec
	s_and_b64 s[12:13], s[12:13], exec
	s_xor_b64 s[14:15], exec, -1
	s_or_b64 s[12:13], s[20:21], s[12:13]
.LBB39_212:
	s_or_b64 exec, exec, s[0:1]
	s_and_b64 s[0:1], s[14:15], exec
	s_andn2_b64 s[4:5], s[4:5], exec
	s_and_b64 s[14:15], s[18:19], exec
	s_or_b64 s[4:5], s[4:5], s[14:15]
	s_andn2_b64 s[8:9], s[8:9], exec
	s_and_b64 s[14:15], s[16:17], exec
	s_andn2_b64 s[10:11], s[10:11], exec
	s_and_b64 s[12:13], s[12:13], exec
	s_or_b64 s[8:9], s[8:9], s[14:15]
	s_or_b64 s[10:11], s[10:11], s[12:13]
	s_or_b64 exec, exec, s[2:3]
	s_and_saveexec_b64 s[2:3], s[10:11]
	s_cbranch_execz .LBB39_147
.LBB39_213:
	v_mov_b32_e32 v2, 0
	s_andn2_b64 s[8:9], s[8:9], exec
	global_store_short v2, v12, s[6:7]
                                        ; implicit-def: $vgpr10
                                        ; implicit-def: $vgpr11
	s_or_b64 exec, exec, s[2:3]
	s_and_saveexec_b64 s[2:3], s[8:9]
	s_cbranch_execz .LBB39_148
.LBB39_214:
	v_mov_b32_e32 v2, 0
	global_store_short v2, v11, s[6:7]
                                        ; implicit-def: $vgpr10
	s_or_b64 exec, exec, s[2:3]
	s_and_saveexec_b64 s[2:3], s[4:5]
	s_xor_b64 s[2:3], exec, s[2:3]
	s_cbranch_execz .LBB39_149
.LBB39_215:
	v_mov_b32_e32 v2, 0
	global_store_short v2, v10, s[6:7]
	s_or_b64 exec, exec, s[2:3]
	s_and_b64 exec, exec, s[0:1]
	s_cbranch_execz .LBB39_150
.LBB39_216:
	v_cmp_lt_i64_e32 vcc, 2, v[0:1]
	s_and_saveexec_b64 s[0:1], vcc
	s_xor_b64 s[0:1], exec, s[0:1]
	s_cbranch_execz .LBB39_226
; %bb.217:
	v_cmp_lt_i64_e32 vcc, 3, v[0:1]
	s_and_saveexec_b64 s[2:3], vcc
	s_xor_b64 s[2:3], exec, s[2:3]
	s_cbranch_execz .LBB39_223
; %bb.218:
	;; [unrolled: 5-line block ×3, first 2 shown]
	v_mov_b32_e32 v0, 0
	global_store_short v0, v9, s[6:7]
                                        ; implicit-def: $vgpr6
.LBB39_220:
	s_andn2_saveexec_b64 s[4:5], s[4:5]
	s_cbranch_execz .LBB39_222
; %bb.221:
	v_mov_b32_e32 v0, 0
	global_store_short v0, v6, s[6:7]
.LBB39_222:
	s_or_b64 exec, exec, s[4:5]
                                        ; implicit-def: $vgpr8
.LBB39_223:
	s_andn2_saveexec_b64 s[2:3], s[2:3]
	s_cbranch_execz .LBB39_225
; %bb.224:
	v_mov_b32_e32 v0, 0
	global_store_short v0, v8, s[6:7]
.LBB39_225:
	s_or_b64 exec, exec, s[2:3]
                                        ; implicit-def: $vgpr0_vgpr1
                                        ; implicit-def: $vgpr7
                                        ; implicit-def: $vgpr4
                                        ; implicit-def: $vgpr5
.LBB39_226:
	s_andn2_saveexec_b64 s[0:1], s[0:1]
	s_cbranch_execz .LBB39_150
; %bb.227:
	v_cmp_lt_i64_e32 vcc, 1, v[0:1]
	s_and_saveexec_b64 s[0:1], vcc
	s_xor_b64 s[0:1], exec, s[0:1]
	s_cbranch_execz .LBB39_229
; %bb.228:
	v_mov_b32_e32 v0, 0
	global_store_short v0, v7, s[6:7]
                                        ; implicit-def: $vgpr4
                                        ; implicit-def: $vgpr0_vgpr1
                                        ; implicit-def: $vgpr5
.LBB39_229:
	s_andn2_saveexec_b64 s[0:1], s[0:1]
	s_cbranch_execz .LBB39_150
; %bb.230:
	v_cmp_ne_u64_e32 vcc, 1, v[0:1]
	s_and_saveexec_b64 s[0:1], vcc
	s_xor_b64 s[0:1], exec, s[0:1]
	s_cbranch_execz .LBB39_232
; %bb.231:
	v_mov_b32_e32 v0, 0
	global_store_short v0, v5, s[6:7]
                                        ; implicit-def: $vgpr4
.LBB39_232:
	s_andn2_saveexec_b64 s[0:1], s[0:1]
	s_cbranch_execz .LBB39_150
; %bb.233:
	v_mov_b32_e32 v0, 0
	global_store_short v0, v4, s[6:7]
	s_endpgm
	.section	.rodata,"a",@progbits
	.p2align	6, 0x0
	.amdhsa_kernel _ZN7rocprim17ROCPRIM_304000_NS6detail20lookback_scan_kernelILNS1_25lookback_scan_determinismE0ELb0ENS1_19wrapped_scan_configINS0_14default_configEsEEPKsPsSt10multipliesIsEssNS1_19lookback_scan_stateIsLb0ELb1EEEEEvT2_T3_mT5_T4_T7_jPT6_SK_bb
		.amdhsa_group_segment_fixed_size 12288
		.amdhsa_private_segment_fixed_size 0
		.amdhsa_kernarg_size 68
		.amdhsa_user_sgpr_count 2
		.amdhsa_user_sgpr_dispatch_ptr 0
		.amdhsa_user_sgpr_queue_ptr 0
		.amdhsa_user_sgpr_kernarg_segment_ptr 1
		.amdhsa_user_sgpr_dispatch_id 0
		.amdhsa_user_sgpr_kernarg_preload_length 0
		.amdhsa_user_sgpr_kernarg_preload_offset 0
		.amdhsa_user_sgpr_private_segment_size 0
		.amdhsa_uses_dynamic_stack 0
		.amdhsa_enable_private_segment 0
		.amdhsa_system_sgpr_workgroup_id_x 1
		.amdhsa_system_sgpr_workgroup_id_y 0
		.amdhsa_system_sgpr_workgroup_id_z 0
		.amdhsa_system_sgpr_workgroup_info 0
		.amdhsa_system_vgpr_workitem_id 0
		.amdhsa_next_free_vgpr 55
		.amdhsa_next_free_sgpr 26
		.amdhsa_accum_offset 56
		.amdhsa_reserve_vcc 1
		.amdhsa_float_round_mode_32 0
		.amdhsa_float_round_mode_16_64 0
		.amdhsa_float_denorm_mode_32 3
		.amdhsa_float_denorm_mode_16_64 3
		.amdhsa_dx10_clamp 1
		.amdhsa_ieee_mode 1
		.amdhsa_fp16_overflow 0
		.amdhsa_tg_split 0
		.amdhsa_exception_fp_ieee_invalid_op 0
		.amdhsa_exception_fp_denorm_src 0
		.amdhsa_exception_fp_ieee_div_zero 0
		.amdhsa_exception_fp_ieee_overflow 0
		.amdhsa_exception_fp_ieee_underflow 0
		.amdhsa_exception_fp_ieee_inexact 0
		.amdhsa_exception_int_div_zero 0
	.end_amdhsa_kernel
	.section	.text._ZN7rocprim17ROCPRIM_304000_NS6detail20lookback_scan_kernelILNS1_25lookback_scan_determinismE0ELb0ENS1_19wrapped_scan_configINS0_14default_configEsEEPKsPsSt10multipliesIsEssNS1_19lookback_scan_stateIsLb0ELb1EEEEEvT2_T3_mT5_T4_T7_jPT6_SK_bb,"axG",@progbits,_ZN7rocprim17ROCPRIM_304000_NS6detail20lookback_scan_kernelILNS1_25lookback_scan_determinismE0ELb0ENS1_19wrapped_scan_configINS0_14default_configEsEEPKsPsSt10multipliesIsEssNS1_19lookback_scan_stateIsLb0ELb1EEEEEvT2_T3_mT5_T4_T7_jPT6_SK_bb,comdat
.Lfunc_end39:
	.size	_ZN7rocprim17ROCPRIM_304000_NS6detail20lookback_scan_kernelILNS1_25lookback_scan_determinismE0ELb0ENS1_19wrapped_scan_configINS0_14default_configEsEEPKsPsSt10multipliesIsEssNS1_19lookback_scan_stateIsLb0ELb1EEEEEvT2_T3_mT5_T4_T7_jPT6_SK_bb, .Lfunc_end39-_ZN7rocprim17ROCPRIM_304000_NS6detail20lookback_scan_kernelILNS1_25lookback_scan_determinismE0ELb0ENS1_19wrapped_scan_configINS0_14default_configEsEEPKsPsSt10multipliesIsEssNS1_19lookback_scan_stateIsLb0ELb1EEEEEvT2_T3_mT5_T4_T7_jPT6_SK_bb
                                        ; -- End function
	.section	.AMDGPU.csdata,"",@progbits
; Kernel info:
; codeLenInByte = 8480
; NumSgprs: 32
; NumVgprs: 55
; NumAgprs: 0
; TotalNumVgprs: 55
; ScratchSize: 0
; MemoryBound: 0
; FloatMode: 240
; IeeeMode: 1
; LDSByteSize: 12288 bytes/workgroup (compile time only)
; SGPRBlocks: 3
; VGPRBlocks: 6
; NumSGPRsForWavesPerEU: 32
; NumVGPRsForWavesPerEU: 55
; AccumOffset: 56
; Occupancy: 5
; WaveLimiterHint : 1
; COMPUTE_PGM_RSRC2:SCRATCH_EN: 0
; COMPUTE_PGM_RSRC2:USER_SGPR: 2
; COMPUTE_PGM_RSRC2:TRAP_HANDLER: 0
; COMPUTE_PGM_RSRC2:TGID_X_EN: 1
; COMPUTE_PGM_RSRC2:TGID_Y_EN: 0
; COMPUTE_PGM_RSRC2:TGID_Z_EN: 0
; COMPUTE_PGM_RSRC2:TIDIG_COMP_CNT: 0
; COMPUTE_PGM_RSRC3_GFX90A:ACCUM_OFFSET: 13
; COMPUTE_PGM_RSRC3_GFX90A:TG_SPLIT: 0
	.section	.text._ZN7rocprim17ROCPRIM_304000_NS6detail16transform_kernelINS1_24wrapped_transform_configINS0_14default_configEsEEsPsS6_NS0_8identityIsEEEEvT1_mT2_T3_,"axG",@progbits,_ZN7rocprim17ROCPRIM_304000_NS6detail16transform_kernelINS1_24wrapped_transform_configINS0_14default_configEsEEsPsS6_NS0_8identityIsEEEEvT1_mT2_T3_,comdat
	.protected	_ZN7rocprim17ROCPRIM_304000_NS6detail16transform_kernelINS1_24wrapped_transform_configINS0_14default_configEsEEsPsS6_NS0_8identityIsEEEEvT1_mT2_T3_ ; -- Begin function _ZN7rocprim17ROCPRIM_304000_NS6detail16transform_kernelINS1_24wrapped_transform_configINS0_14default_configEsEEsPsS6_NS0_8identityIsEEEEvT1_mT2_T3_
	.globl	_ZN7rocprim17ROCPRIM_304000_NS6detail16transform_kernelINS1_24wrapped_transform_configINS0_14default_configEsEEsPsS6_NS0_8identityIsEEEEvT1_mT2_T3_
	.p2align	8
	.type	_ZN7rocprim17ROCPRIM_304000_NS6detail16transform_kernelINS1_24wrapped_transform_configINS0_14default_configEsEEsPsS6_NS0_8identityIsEEEEvT1_mT2_T3_,@function
_ZN7rocprim17ROCPRIM_304000_NS6detail16transform_kernelINS1_24wrapped_transform_configINS0_14default_configEsEEsPsS6_NS0_8identityIsEEEEvT1_mT2_T3_: ; @_ZN7rocprim17ROCPRIM_304000_NS6detail16transform_kernelINS1_24wrapped_transform_configINS0_14default_configEsEEsPsS6_NS0_8identityIsEEEEvT1_mT2_T3_
; %bb.0:
	s_load_dword s3, s[0:1], 0x20
	s_load_dwordx4 s[4:7], s[0:1], 0x0
	s_load_dwordx2 s[14:15], s[0:1], 0x10
	s_lshl_b32 s0, s2, 11
	s_mov_b32 s1, 0
	s_waitcnt lgkmcnt(0)
	s_add_i32 s3, s3, -1
	s_lshl_b64 s[16:17], s[0:1], 1
	s_add_u32 s4, s4, s16
	s_addc_u32 s5, s5, s17
	v_mov_b32_e32 v7, 0
	v_lshlrev_b32_e32 v6, 1, v0
	s_cmp_lg_u32 s2, s3
	v_lshl_add_u64 v[8:9], s[4:5], 0, v[6:7]
	s_cbranch_scc0 .LBB40_2
; %bb.1:
	global_load_ushort v2, v[8:9], off
	global_load_ushort v3, v[8:9], off offset:512
	global_load_ushort v4, v[8:9], off offset:1024
	;; [unrolled: 1-line block ×7, first 2 shown]
	s_add_u32 s4, s14, s16
	s_addc_u32 s5, s15, s17
	s_mov_b64 s[18:19], -1
	s_waitcnt vmcnt(7)
	global_store_short v6, v2, s[4:5]
	s_waitcnt vmcnt(7)
	global_store_short v6, v3, s[4:5] offset:512
	s_waitcnt vmcnt(7)
	global_store_short v6, v4, s[4:5] offset:1024
	;; [unrolled: 2-line block ×6, first 2 shown]
	s_cbranch_execz .LBB40_3
	s_branch .LBB40_32
.LBB40_2:
	s_mov_b64 s[18:19], 0
                                        ; implicit-def: $vgpr1
.LBB40_3:
	s_sub_i32 s20, s6, s0
	v_cmp_gt_u32_e32 vcc, s20, v0
                                        ; implicit-def: $vgpr2_vgpr3_vgpr4_vgpr5
	s_and_saveexec_b64 s[0:1], vcc
	s_cbranch_execz .LBB40_5
; %bb.4:
	global_load_ushort v2, v[8:9], off
.LBB40_5:
	s_or_b64 exec, exec, s[0:1]
	s_waitcnt vmcnt(7)
	v_or_b32_e32 v1, 0x100, v0
	v_cmp_gt_u32_e64 s[0:1], s20, v1
	s_and_saveexec_b64 s[2:3], s[0:1]
	s_cbranch_execz .LBB40_7
; %bb.6:
	global_load_ushort v1, v[8:9], off offset:512
	s_mov_b32 s4, 0x5040100
	s_waitcnt vmcnt(0)
	v_perm_b32 v2, v1, v2, s4
.LBB40_7:
	s_or_b64 exec, exec, s[2:3]
	v_or_b32_e32 v1, 0x200, v0
	v_cmp_gt_u32_e64 s[2:3], s20, v1
	s_and_saveexec_b64 s[4:5], s[2:3]
	s_cbranch_execz .LBB40_9
; %bb.8:
	global_load_ushort v1, v[8:9], off offset:1024
	s_mov_b32 s6, 0xffff
	s_waitcnt vmcnt(0)
	v_bfi_b32 v3, s6, v1, v3
.LBB40_9:
	s_or_b64 exec, exec, s[4:5]
	v_or_b32_e32 v1, 0x300, v0
	v_cmp_gt_u32_e64 s[4:5], s20, v1
	s_and_saveexec_b64 s[6:7], s[4:5]
	s_cbranch_execz .LBB40_11
; %bb.10:
	global_load_ushort v1, v[8:9], off offset:1536
	s_mov_b32 s8, 0x5040100
	s_waitcnt vmcnt(0)
	v_perm_b32 v3, v1, v3, s8
.LBB40_11:
	s_or_b64 exec, exec, s[6:7]
	v_or_b32_e32 v1, 0x400, v0
	v_cmp_gt_u32_e64 s[6:7], s20, v1
	s_and_saveexec_b64 s[8:9], s[6:7]
	s_cbranch_execz .LBB40_13
; %bb.12:
	global_load_ushort v1, v[8:9], off offset:2048
	s_mov_b32 s10, 0xffff
	s_waitcnt vmcnt(0)
	v_bfi_b32 v4, s10, v1, v4
.LBB40_13:
	s_or_b64 exec, exec, s[8:9]
	;; [unrolled: 22-line block ×3, first 2 shown]
	v_or_b32_e32 v0, 0x700, v0
	v_cmp_gt_u32_e64 s[12:13], s20, v0
	s_and_saveexec_b64 s[20:21], s[12:13]
	s_cbranch_execz .LBB40_19
; %bb.18:
	global_load_ushort v0, v[8:9], off offset:3584
	s_mov_b32 s22, 0x5040100
	s_waitcnt vmcnt(0)
	v_perm_b32 v5, v0, v5, s22
.LBB40_19:
	s_or_b64 exec, exec, s[20:21]
	s_add_u32 s20, s14, s16
	s_addc_u32 s21, s15, s17
	v_mov_b32_e32 v7, 0
	v_lshl_add_u64 v[0:1], s[20:21], 0, v[6:7]
	s_and_saveexec_b64 s[20:21], vcc
	s_cbranch_execnz .LBB40_35
; %bb.20:
	s_or_b64 exec, exec, s[20:21]
	s_and_saveexec_b64 s[20:21], s[0:1]
	s_cbranch_execnz .LBB40_36
.LBB40_21:
	s_or_b64 exec, exec, s[20:21]
	s_mov_b32 s20, 0xffff
	s_and_saveexec_b64 s[0:1], s[2:3]
	s_cbranch_execz .LBB40_23
.LBB40_22:
	global_store_short v[0:1], v3, off offset:1024
.LBB40_23:
	s_or_b64 exec, exec, s[0:1]
	s_waitcnt vmcnt(0)
	v_bfi_b32 v2, s20, v3, v3
	v_cndmask_b32_e64 v2, v2, v3, s[4:5]
	s_and_saveexec_b64 s[0:1], s[4:5]
	s_cbranch_execz .LBB40_25
; %bb.24:
	global_store_short_d16_hi v[0:1], v2, off offset:1536
.LBB40_25:
	s_or_b64 exec, exec, s[0:1]
	s_mov_b32 s2, 0xffff
	v_cndmask_b32_e64 v2, v4, v4, s[6:7]
	s_and_saveexec_b64 s[0:1], s[6:7]
	s_cbranch_execz .LBB40_27
; %bb.26:
	global_store_short v[0:1], v2, off offset:2048
.LBB40_27:
	s_or_b64 exec, exec, s[0:1]
	v_bfi_b32 v2, s2, v2, v4
	v_cndmask_b32_e64 v2, v2, v4, s[8:9]
	s_and_saveexec_b64 s[0:1], s[8:9]
	s_cbranch_execnz .LBB40_37
; %bb.28:
	s_or_b64 exec, exec, s[0:1]
	s_and_saveexec_b64 s[0:1], s[10:11]
	s_cbranch_execnz .LBB40_38
.LBB40_29:
	s_or_b64 exec, exec, s[0:1]
                                        ; implicit-def: $vgpr1
	s_and_saveexec_b64 s[0:1], s[12:13]
.LBB40_30:
	v_cndmask_b32_e64 v0, v5, v5, s[12:13]
	v_lshrrev_b32_e32 v1, 16, v0
	s_or_b64 s[18:19], s[18:19], exec
.LBB40_31:
	s_or_b64 exec, exec, s[0:1]
.LBB40_32:
	s_and_saveexec_b64 s[0:1], s[18:19]
	s_cbranch_execnz .LBB40_34
; %bb.33:
	s_endpgm
.LBB40_34:
	s_add_u32 s0, s14, s16
	s_addc_u32 s1, s15, s17
	s_waitcnt vmcnt(7)
	global_store_short v6, v1, s[0:1] offset:3584
	s_endpgm
.LBB40_35:
	s_waitcnt vmcnt(0)
	global_store_short v[0:1], v2, off
	s_or_b64 exec, exec, s[20:21]
	s_and_saveexec_b64 s[20:21], s[0:1]
	s_cbranch_execz .LBB40_21
.LBB40_36:
	s_waitcnt vmcnt(0)
	global_store_short_d16_hi v[0:1], v2, off offset:512
	s_or_b64 exec, exec, s[20:21]
	s_mov_b32 s20, 0xffff
	s_and_saveexec_b64 s[0:1], s[2:3]
	s_cbranch_execnz .LBB40_22
	s_branch .LBB40_23
.LBB40_37:
	global_store_short_d16_hi v[0:1], v2, off offset:2560
	s_or_b64 exec, exec, s[0:1]
	s_and_saveexec_b64 s[0:1], s[10:11]
	s_cbranch_execz .LBB40_29
.LBB40_38:
	v_cndmask_b32_e64 v2, v5, v5, s[10:11]
	global_store_short v[0:1], v2, off offset:3072
	s_or_b64 exec, exec, s[0:1]
                                        ; implicit-def: $vgpr1
	s_and_saveexec_b64 s[0:1], s[12:13]
	s_cbranch_execnz .LBB40_30
	s_branch .LBB40_31
	.section	.rodata,"a",@progbits
	.p2align	6, 0x0
	.amdhsa_kernel _ZN7rocprim17ROCPRIM_304000_NS6detail16transform_kernelINS1_24wrapped_transform_configINS0_14default_configEsEEsPsS6_NS0_8identityIsEEEEvT1_mT2_T3_
		.amdhsa_group_segment_fixed_size 0
		.amdhsa_private_segment_fixed_size 0
		.amdhsa_kernarg_size 288
		.amdhsa_user_sgpr_count 2
		.amdhsa_user_sgpr_dispatch_ptr 0
		.amdhsa_user_sgpr_queue_ptr 0
		.amdhsa_user_sgpr_kernarg_segment_ptr 1
		.amdhsa_user_sgpr_dispatch_id 0
		.amdhsa_user_sgpr_kernarg_preload_length 0
		.amdhsa_user_sgpr_kernarg_preload_offset 0
		.amdhsa_user_sgpr_private_segment_size 0
		.amdhsa_uses_dynamic_stack 0
		.amdhsa_enable_private_segment 0
		.amdhsa_system_sgpr_workgroup_id_x 1
		.amdhsa_system_sgpr_workgroup_id_y 0
		.amdhsa_system_sgpr_workgroup_id_z 0
		.amdhsa_system_sgpr_workgroup_info 0
		.amdhsa_system_vgpr_workitem_id 0
		.amdhsa_next_free_vgpr 12
		.amdhsa_next_free_sgpr 23
		.amdhsa_accum_offset 12
		.amdhsa_reserve_vcc 1
		.amdhsa_float_round_mode_32 0
		.amdhsa_float_round_mode_16_64 0
		.amdhsa_float_denorm_mode_32 3
		.amdhsa_float_denorm_mode_16_64 3
		.amdhsa_dx10_clamp 1
		.amdhsa_ieee_mode 1
		.amdhsa_fp16_overflow 0
		.amdhsa_tg_split 0
		.amdhsa_exception_fp_ieee_invalid_op 0
		.amdhsa_exception_fp_denorm_src 0
		.amdhsa_exception_fp_ieee_div_zero 0
		.amdhsa_exception_fp_ieee_overflow 0
		.amdhsa_exception_fp_ieee_underflow 0
		.amdhsa_exception_fp_ieee_inexact 0
		.amdhsa_exception_int_div_zero 0
	.end_amdhsa_kernel
	.section	.text._ZN7rocprim17ROCPRIM_304000_NS6detail16transform_kernelINS1_24wrapped_transform_configINS0_14default_configEsEEsPsS6_NS0_8identityIsEEEEvT1_mT2_T3_,"axG",@progbits,_ZN7rocprim17ROCPRIM_304000_NS6detail16transform_kernelINS1_24wrapped_transform_configINS0_14default_configEsEEsPsS6_NS0_8identityIsEEEEvT1_mT2_T3_,comdat
.Lfunc_end40:
	.size	_ZN7rocprim17ROCPRIM_304000_NS6detail16transform_kernelINS1_24wrapped_transform_configINS0_14default_configEsEEsPsS6_NS0_8identityIsEEEEvT1_mT2_T3_, .Lfunc_end40-_ZN7rocprim17ROCPRIM_304000_NS6detail16transform_kernelINS1_24wrapped_transform_configINS0_14default_configEsEEsPsS6_NS0_8identityIsEEEEvT1_mT2_T3_
                                        ; -- End function
	.section	.AMDGPU.csdata,"",@progbits
; Kernel info:
; codeLenInByte = 1032
; NumSgprs: 29
; NumVgprs: 12
; NumAgprs: 0
; TotalNumVgprs: 12
; ScratchSize: 0
; MemoryBound: 0
; FloatMode: 240
; IeeeMode: 1
; LDSByteSize: 0 bytes/workgroup (compile time only)
; SGPRBlocks: 3
; VGPRBlocks: 1
; NumSGPRsForWavesPerEU: 29
; NumVGPRsForWavesPerEU: 12
; AccumOffset: 12
; Occupancy: 8
; WaveLimiterHint : 1
; COMPUTE_PGM_RSRC2:SCRATCH_EN: 0
; COMPUTE_PGM_RSRC2:USER_SGPR: 2
; COMPUTE_PGM_RSRC2:TRAP_HANDLER: 0
; COMPUTE_PGM_RSRC2:TGID_X_EN: 1
; COMPUTE_PGM_RSRC2:TGID_Y_EN: 0
; COMPUTE_PGM_RSRC2:TGID_Z_EN: 0
; COMPUTE_PGM_RSRC2:TIDIG_COMP_CNT: 0
; COMPUTE_PGM_RSRC3_GFX90A:ACCUM_OFFSET: 2
; COMPUTE_PGM_RSRC3_GFX90A:TG_SPLIT: 0
	.section	.text._ZN7rocprim17ROCPRIM_304000_NS6detail18single_scan_kernelILb0ENS1_19wrapped_scan_configINS0_14default_configEsEEPKsPsSt10multipliesIsEssEEvT1_mT4_T2_T3_,"axG",@progbits,_ZN7rocprim17ROCPRIM_304000_NS6detail18single_scan_kernelILb0ENS1_19wrapped_scan_configINS0_14default_configEsEEPKsPsSt10multipliesIsEssEEvT1_mT4_T2_T3_,comdat
	.protected	_ZN7rocprim17ROCPRIM_304000_NS6detail18single_scan_kernelILb0ENS1_19wrapped_scan_configINS0_14default_configEsEEPKsPsSt10multipliesIsEssEEvT1_mT4_T2_T3_ ; -- Begin function _ZN7rocprim17ROCPRIM_304000_NS6detail18single_scan_kernelILb0ENS1_19wrapped_scan_configINS0_14default_configEsEEPKsPsSt10multipliesIsEssEEvT1_mT4_T2_T3_
	.globl	_ZN7rocprim17ROCPRIM_304000_NS6detail18single_scan_kernelILb0ENS1_19wrapped_scan_configINS0_14default_configEsEEPKsPsSt10multipliesIsEssEEvT1_mT4_T2_T3_
	.p2align	8
	.type	_ZN7rocprim17ROCPRIM_304000_NS6detail18single_scan_kernelILb0ENS1_19wrapped_scan_configINS0_14default_configEsEEPKsPsSt10multipliesIsEssEEvT1_mT4_T2_T3_,@function
_ZN7rocprim17ROCPRIM_304000_NS6detail18single_scan_kernelILb0ENS1_19wrapped_scan_configINS0_14default_configEsEEPKsPsSt10multipliesIsEssEEvT1_mT4_T2_T3_: ; @_ZN7rocprim17ROCPRIM_304000_NS6detail18single_scan_kernelILb0ENS1_19wrapped_scan_configINS0_14default_configEsEEPKsPsSt10multipliesIsEssEEvT1_mT4_T2_T3_
; %bb.0:
	s_load_dwordx4 s[48:51], s[0:1], 0x0
	v_mov_b32_e32 v15, 0
	v_lshlrev_b32_e32 v14, 1, v0
	s_waitcnt lgkmcnt(0)
	global_load_ushort v1, v15, s[48:49]
	v_lshl_add_u64 v[2:3], s[48:49], 0, v[14:15]
	v_cmp_gt_u32_e64 s[34:35], s50, v0
	s_waitcnt vmcnt(0)
	v_mov_b32_e32 v4, v1
	s_and_saveexec_b64 s[2:3], s[34:35]
	s_cbranch_execz .LBB41_2
; %bb.1:
	global_load_ushort v4, v[2:3], off
.LBB41_2:
	s_or_b64 exec, exec, s[2:3]
	v_or_b32_e32 v5, 0x100, v0
	v_cmp_gt_u32_e64 s[2:3], s50, v5
	v_mov_b32_e32 v5, v1
	s_and_saveexec_b64 s[4:5], s[2:3]
	s_cbranch_execz .LBB41_4
; %bb.3:
	global_load_ushort v5, v[2:3], off offset:512
.LBB41_4:
	s_or_b64 exec, exec, s[4:5]
	v_or_b32_e32 v6, 0x200, v0
	v_cmp_gt_u32_e64 s[4:5], s50, v6
	v_mov_b32_e32 v6, v1
	s_and_saveexec_b64 s[6:7], s[4:5]
	s_cbranch_execz .LBB41_6
; %bb.5:
	global_load_ushort v6, v[2:3], off offset:1024
.LBB41_6:
	;; [unrolled: 9-line block ×7, first 2 shown]
	s_or_b64 exec, exec, s[16:17]
	v_or_b32_e32 v12, 0x800, v0
	v_cmp_gt_u32_e64 s[16:17], s50, v12
	v_mov_b32_e32 v12, v1
	s_and_saveexec_b64 s[18:19], s[16:17]
	s_cbranch_execz .LBB41_18
; %bb.17:
	v_add_co_u32_e32 v12, vcc, 0x1000, v2
	s_nop 1
	v_addc_co_u32_e32 v13, vcc, 0, v3, vcc
	global_load_ushort v12, v[12:13], off
.LBB41_18:
	s_or_b64 exec, exec, s[18:19]
	v_or_b32_e32 v13, 0x900, v0
	v_cmp_gt_u32_e64 s[18:19], s50, v13
	v_mov_b32_e32 v13, v1
	s_and_saveexec_b64 s[20:21], s[18:19]
	s_cbranch_execz .LBB41_20
; %bb.19:
	v_add_co_u32_e32 v16, vcc, 0x1000, v2
	s_nop 1
	v_addc_co_u32_e32 v17, vcc, 0, v3, vcc
	global_load_ushort v13, v[16:17], off offset:512
.LBB41_20:
	s_or_b64 exec, exec, s[20:21]
	v_or_b32_e32 v15, 0xa00, v0
	v_cmp_gt_u32_e64 s[20:21], s50, v15
	v_mov_b32_e32 v15, v1
	s_and_saveexec_b64 s[22:23], s[20:21]
	s_cbranch_execz .LBB41_22
; %bb.21:
	v_add_co_u32_e32 v16, vcc, 0x1000, v2
	s_nop 1
	v_addc_co_u32_e32 v17, vcc, 0, v3, vcc
	global_load_ushort v15, v[16:17], off offset:1024
.LBB41_22:
	;; [unrolled: 12-line block ×7, first 2 shown]
	s_or_b64 exec, exec, s[36:37]
	v_or_b32_e32 v21, 0x1000, v0
	v_cmp_gt_u32_e64 s[36:37], s50, v21
	v_mov_b32_e32 v21, v1
	s_and_saveexec_b64 s[38:39], s[36:37]
	s_cbranch_execz .LBB41_34
; %bb.33:
	v_add_co_u32_e32 v22, vcc, 0x2000, v2
	s_nop 1
	v_addc_co_u32_e32 v23, vcc, 0, v3, vcc
	global_load_ushort v21, v[22:23], off
.LBB41_34:
	s_or_b64 exec, exec, s[38:39]
	v_or_b32_e32 v22, 0x1100, v0
	v_cmp_gt_u32_e64 s[38:39], s50, v22
	v_mov_b32_e32 v22, v1
	s_and_saveexec_b64 s[40:41], s[38:39]
	s_cbranch_execz .LBB41_36
; %bb.35:
	v_add_co_u32_e32 v22, vcc, 0x2000, v2
	s_nop 1
	v_addc_co_u32_e32 v23, vcc, 0, v3, vcc
	global_load_ushort v22, v[22:23], off offset:512
.LBB41_36:
	s_or_b64 exec, exec, s[40:41]
	v_or_b32_e32 v23, 0x1200, v0
	v_cmp_gt_u32_e64 s[40:41], s50, v23
	v_mov_b32_e32 v23, v1
	s_and_saveexec_b64 s[42:43], s[40:41]
	s_cbranch_execz .LBB41_38
; %bb.37:
	v_add_co_u32_e32 v24, vcc, 0x2000, v2
	s_nop 1
	v_addc_co_u32_e32 v25, vcc, 0, v3, vcc
	global_load_ushort v23, v[24:25], off offset:1024
.LBB41_38:
	;; [unrolled: 12-line block ×6, first 2 shown]
	s_or_b64 exec, exec, s[52:53]
	v_or_b32_e32 v28, 0x1700, v0
	v_cmp_gt_u32_e64 s[50:51], s50, v28
	s_and_saveexec_b64 s[52:53], s[50:51]
	s_cbranch_execz .LBB41_48
; %bb.47:
	v_add_co_u32_e32 v2, vcc, 0x2000, v2
	s_nop 1
	v_addc_co_u32_e32 v3, vcc, 0, v3, vcc
	global_load_ushort v1, v[2:3], off offset:3584
.LBB41_48:
	s_or_b64 exec, exec, s[52:53]
	s_waitcnt vmcnt(0)
	ds_write_b16 v14, v4
	ds_write_b16 v14, v5 offset:512
	ds_write_b16 v14, v6 offset:1024
	;; [unrolled: 1-line block ×23, first 2 shown]
	v_mad_u32_u24 v1, v0, 46, v14
	s_waitcnt lgkmcnt(0)
	s_barrier
	ds_read_b128 v[10:13], v1
	ds_read_b128 v[6:9], v1 offset:16
	ds_read_b128 v[2:5], v1 offset:32
	s_waitcnt lgkmcnt(0)
	s_barrier
	v_mul_lo_u16_sdwa v1, v10, v10 dst_sel:DWORD dst_unused:UNUSED_PAD src0_sel:WORD_1 src1_sel:DWORD
	v_mul_lo_u16_e32 v1, v1, v11
	v_mul_lo_u16_sdwa v1, v1, v11 dst_sel:DWORD dst_unused:UNUSED_PAD src0_sel:DWORD src1_sel:WORD_1
	v_mul_lo_u16_e32 v1, v1, v12
	v_mul_lo_u16_sdwa v1, v1, v12 dst_sel:DWORD dst_unused:UNUSED_PAD src0_sel:DWORD src1_sel:WORD_1
	;; [unrolled: 2-line block ×11, first 2 shown]
	v_mbcnt_lo_u32_b32 v1, -1, 0
	v_mbcnt_hi_u32_b32 v1, -1, v1
	v_and_b32_e32 v16, 15, v1
	v_mov_b32_dpp v17, v15 row_shr:1 row_mask:0xf bank_mask:0xf
	v_mul_lo_u16_e32 v17, v15, v17
	v_cmp_eq_u32_e32 vcc, 0, v16
	s_nop 1
	v_cndmask_b32_e32 v15, v17, v15, vcc
	v_cmp_lt_u32_e32 vcc, 1, v16
	s_nop 0
	v_mov_b32_dpp v17, v15 row_shr:2 row_mask:0xf bank_mask:0xf
	v_mul_lo_u16_e32 v17, v15, v17
	v_cndmask_b32_e32 v15, v15, v17, vcc
	v_cmp_lt_u32_e32 vcc, 3, v16
	s_nop 0
	v_mov_b32_dpp v17, v15 row_shr:4 row_mask:0xf bank_mask:0xf
	v_mul_lo_u16_e32 v17, v15, v17
	;; [unrolled: 5-line block ×3, first 2 shown]
	v_cndmask_b32_e32 v15, v15, v17, vcc
	v_and_b32_e32 v17, 16, v1
	v_cmp_eq_u32_e32 vcc, 0, v17
	v_mov_b32_dpp v16, v15 row_bcast:15 row_mask:0xf bank_mask:0xf
	v_mul_lo_u16_e32 v16, v15, v16
	v_cndmask_b32_e32 v15, v16, v15, vcc
	v_cmp_lt_u32_e32 vcc, 31, v1
	v_lshrrev_b32_e32 v17, 6, v0
	v_mov_b32_dpp v16, v15 row_bcast:31 row_mask:0xf bank_mask:0xf
	v_cndmask_b32_e32 v16, 1, v16, vcc
	v_mul_lo_u16_e32 v15, v15, v16
	v_or_b32_e32 v16, 63, v0
	v_cmp_eq_u32_e32 vcc, v16, v0
	s_and_saveexec_b64 s[52:53], vcc
	s_cbranch_execz .LBB41_50
; %bb.49:
	v_lshlrev_b32_e32 v16, 1, v17
	ds_write_b16 v16, v15
.LBB41_50:
	s_or_b64 exec, exec, s[52:53]
	v_cmp_gt_u32_e32 vcc, 4, v0
	s_waitcnt lgkmcnt(0)
	s_barrier
	s_and_saveexec_b64 s[52:53], vcc
	s_cbranch_execz .LBB41_52
; %bb.51:
	ds_read_u16 v16, v14
	v_and_b32_e32 v18, 3, v1
	v_cmp_eq_u32_e32 vcc, 0, v18
	s_waitcnt lgkmcnt(0)
	v_and_b32_e32 v19, 0xffff, v16
	s_nop 1
	v_mov_b32_dpp v20, v19 row_shr:1 row_mask:0xf bank_mask:0xf
	v_mul_lo_u16_e32 v20, v16, v20
	v_cndmask_b32_e32 v19, v20, v19, vcc
	v_cndmask_b32_e32 v16, v20, v16, vcc
	v_cmp_lt_u32_e32 vcc, 1, v18
	v_mov_b32_dpp v19, v19 row_shr:2 row_mask:0xf bank_mask:0xf
	s_nop 0
	v_cndmask_b32_e32 v18, 1, v19, vcc
	v_mul_lo_u16_e32 v16, v16, v18
	ds_write_b16 v14, v16
.LBB41_52:
	s_or_b64 exec, exec, s[52:53]
	v_mul_u32_u24_e32 v16, 46, v0
	v_cmp_lt_u32_e32 vcc, 63, v0
	s_waitcnt lgkmcnt(0)
	s_barrier
	s_waitcnt lgkmcnt(0)
                                        ; implicit-def: $vgpr18
	s_and_saveexec_b64 s[52:53], vcc
	s_cbranch_execz .LBB41_54
; %bb.53:
	v_lshl_add_u32 v17, v17, 1, -2
	ds_read_u16 v18, v17
	s_waitcnt lgkmcnt(0)
	v_mul_lo_u16_e32 v15, v18, v15
.LBB41_54:
	s_or_b64 exec, exec, s[52:53]
	v_add_u32_e32 v17, -1, v1
	v_and_b32_e32 v19, 64, v1
	v_cmp_lt_i32_e32 vcc, v17, v19
	v_and_b32_e32 v15, 0xffff, v15
	s_mov_b32 s33, 0x5040100
	v_cndmask_b32_e32 v17, v17, v1, vcc
	v_lshlrev_b32_e32 v17, 2, v17
	ds_bpermute_b32 v15, v17, v15
	v_cmp_eq_u32_e32 vcc, 0, v1
	v_add_u32_e32 v16, v14, v16
	s_waitcnt lgkmcnt(0)
	s_barrier
	v_cndmask_b32_e32 v1, v15, v18, vcc
	v_cmp_ne_u32_e32 vcc, 0, v0
	s_load_dwordx2 s[0:1], s[0:1], 0x18
	s_nop 0
	v_cndmask_b32_e32 v0, 1, v1, vcc
	v_mul_lo_u16_e32 v0, v0, v10
	v_mul_lo_u16_sdwa v1, v0, v10 dst_sel:DWORD dst_unused:UNUSED_PAD src0_sel:DWORD src1_sel:WORD_1
	v_mul_lo_u16_e32 v10, v1, v11
	v_mul_lo_u16_sdwa v11, v10, v11 dst_sel:DWORD dst_unused:UNUSED_PAD src0_sel:DWORD src1_sel:WORD_1
	;; [unrolled: 2-line block ×11, first 2 shown]
	v_mul_lo_u16_e32 v27, v4, v5
	v_perm_b32 v0, v1, v0, s33
	v_perm_b32 v1, v11, v10, s33
	;; [unrolled: 1-line block ×4, first 2 shown]
	v_mul_lo_u16_sdwa v5, v27, v5 dst_sel:DWORD dst_unused:UNUSED_PAD src0_sel:DWORD src1_sel:WORD_1
	ds_write_b128 v16, v[0:3]
	v_perm_b32 v0, v6, v18, s33
	v_perm_b32 v1, v7, v19, s33
	;; [unrolled: 1-line block ×4, first 2 shown]
	ds_write_b128 v16, v[0:3] offset:16
	v_perm_b32 v0, v23, v22, s33
	v_perm_b32 v1, v25, v24, s33
	;; [unrolled: 1-line block ×4, first 2 shown]
	ds_write_b128 v16, v[0:3] offset:32
	s_waitcnt lgkmcnt(0)
	s_barrier
	ds_read_u16 v26, v14 offset:512
	ds_read_u16 v25, v14 offset:1024
	;; [unrolled: 1-line block ×23, first 2 shown]
	v_mov_b32_e32 v15, 0
	v_lshl_add_u64 v[0:1], s[0:1], 0, v[14:15]
	s_and_saveexec_b64 s[0:1], s[34:35]
	s_cbranch_execnz .LBB41_79
; %bb.55:
	s_or_b64 exec, exec, s[0:1]
	s_and_saveexec_b64 s[0:1], s[2:3]
	s_cbranch_execnz .LBB41_80
.LBB41_56:
	s_or_b64 exec, exec, s[0:1]
	s_and_saveexec_b64 s[0:1], s[4:5]
	s_cbranch_execnz .LBB41_81
.LBB41_57:
	s_or_b64 exec, exec, s[0:1]
	s_and_saveexec_b64 s[0:1], s[6:7]
	s_cbranch_execnz .LBB41_82
.LBB41_58:
	s_or_b64 exec, exec, s[0:1]
	s_and_saveexec_b64 s[0:1], s[8:9]
	s_cbranch_execnz .LBB41_83
.LBB41_59:
	s_or_b64 exec, exec, s[0:1]
	s_and_saveexec_b64 s[0:1], s[10:11]
	s_cbranch_execnz .LBB41_84
.LBB41_60:
	s_or_b64 exec, exec, s[0:1]
	s_and_saveexec_b64 s[0:1], s[12:13]
	s_cbranch_execnz .LBB41_85
.LBB41_61:
	s_or_b64 exec, exec, s[0:1]
	s_and_saveexec_b64 s[0:1], s[14:15]
	s_cbranch_execnz .LBB41_86
.LBB41_62:
	s_or_b64 exec, exec, s[0:1]
	s_and_saveexec_b64 s[0:1], s[16:17]
	s_cbranch_execnz .LBB41_87
.LBB41_63:
	s_or_b64 exec, exec, s[0:1]
	s_and_saveexec_b64 s[0:1], s[18:19]
	s_cbranch_execnz .LBB41_88
.LBB41_64:
	s_or_b64 exec, exec, s[0:1]
	s_and_saveexec_b64 s[0:1], s[20:21]
	s_cbranch_execnz .LBB41_89
.LBB41_65:
	s_or_b64 exec, exec, s[0:1]
	s_and_saveexec_b64 s[0:1], s[22:23]
	s_cbranch_execnz .LBB41_90
.LBB41_66:
	s_or_b64 exec, exec, s[0:1]
	s_and_saveexec_b64 s[0:1], s[24:25]
	s_cbranch_execnz .LBB41_91
.LBB41_67:
	s_or_b64 exec, exec, s[0:1]
	s_and_saveexec_b64 s[0:1], s[26:27]
	s_cbranch_execnz .LBB41_92
.LBB41_68:
	s_or_b64 exec, exec, s[0:1]
	s_and_saveexec_b64 s[0:1], s[28:29]
	s_cbranch_execnz .LBB41_93
.LBB41_69:
	s_or_b64 exec, exec, s[0:1]
	s_and_saveexec_b64 s[0:1], s[30:31]
	s_cbranch_execnz .LBB41_94
.LBB41_70:
	s_or_b64 exec, exec, s[0:1]
	s_and_saveexec_b64 s[0:1], s[36:37]
	s_cbranch_execnz .LBB41_95
.LBB41_71:
	s_or_b64 exec, exec, s[0:1]
	s_and_saveexec_b64 s[0:1], s[38:39]
	s_cbranch_execnz .LBB41_96
.LBB41_72:
	s_or_b64 exec, exec, s[0:1]
	s_and_saveexec_b64 s[0:1], s[40:41]
	s_cbranch_execnz .LBB41_97
.LBB41_73:
	s_or_b64 exec, exec, s[0:1]
	s_and_saveexec_b64 s[0:1], s[42:43]
	s_cbranch_execnz .LBB41_98
.LBB41_74:
	s_or_b64 exec, exec, s[0:1]
	s_and_saveexec_b64 s[0:1], s[44:45]
	s_cbranch_execnz .LBB41_99
.LBB41_75:
	s_or_b64 exec, exec, s[0:1]
	s_and_saveexec_b64 s[0:1], s[46:47]
	s_cbranch_execnz .LBB41_100
.LBB41_76:
	s_or_b64 exec, exec, s[0:1]
	s_and_saveexec_b64 s[0:1], s[48:49]
	s_cbranch_execnz .LBB41_101
.LBB41_77:
	s_or_b64 exec, exec, s[0:1]
	s_and_saveexec_b64 s[0:1], s[50:51]
	s_cbranch_execnz .LBB41_102
.LBB41_78:
	s_endpgm
.LBB41_79:
	ds_read_u16 v14, v14
	s_waitcnt lgkmcnt(0)
	global_store_short v[0:1], v14, off
	s_or_b64 exec, exec, s[0:1]
	s_and_saveexec_b64 s[0:1], s[2:3]
	s_cbranch_execz .LBB41_56
.LBB41_80:
	s_waitcnt lgkmcnt(14)
	global_store_short v[0:1], v26, off offset:512
	s_or_b64 exec, exec, s[0:1]
	s_and_saveexec_b64 s[0:1], s[4:5]
	s_cbranch_execz .LBB41_57
.LBB41_81:
	s_waitcnt lgkmcnt(14)
	global_store_short v[0:1], v25, off offset:1024
	s_or_b64 exec, exec, s[0:1]
	s_and_saveexec_b64 s[0:1], s[6:7]
	s_cbranch_execz .LBB41_58
.LBB41_82:
	s_waitcnt lgkmcnt(14)
	global_store_short v[0:1], v24, off offset:1536
	s_or_b64 exec, exec, s[0:1]
	s_and_saveexec_b64 s[0:1], s[8:9]
	s_cbranch_execz .LBB41_59
.LBB41_83:
	s_waitcnt lgkmcnt(14)
	global_store_short v[0:1], v23, off offset:2048
	s_or_b64 exec, exec, s[0:1]
	s_and_saveexec_b64 s[0:1], s[10:11]
	s_cbranch_execz .LBB41_60
.LBB41_84:
	s_waitcnt lgkmcnt(14)
	global_store_short v[0:1], v22, off offset:2560
	s_or_b64 exec, exec, s[0:1]
	s_and_saveexec_b64 s[0:1], s[12:13]
	s_cbranch_execz .LBB41_61
.LBB41_85:
	s_waitcnt lgkmcnt(14)
	global_store_short v[0:1], v21, off offset:3072
	s_or_b64 exec, exec, s[0:1]
	s_and_saveexec_b64 s[0:1], s[14:15]
	s_cbranch_execz .LBB41_62
.LBB41_86:
	s_waitcnt lgkmcnt(14)
	global_store_short v[0:1], v20, off offset:3584
	s_or_b64 exec, exec, s[0:1]
	s_and_saveexec_b64 s[0:1], s[16:17]
	s_cbranch_execz .LBB41_63
.LBB41_87:
	v_add_co_u32_e32 v14, vcc, 0x1000, v0
	s_nop 1
	v_addc_co_u32_e32 v15, vcc, 0, v1, vcc
	s_waitcnt lgkmcnt(14)
	global_store_short v[14:15], v19, off
	s_or_b64 exec, exec, s[0:1]
	s_and_saveexec_b64 s[0:1], s[18:19]
	s_cbranch_execz .LBB41_64
.LBB41_88:
	v_add_co_u32_e32 v14, vcc, 0x1000, v0
	s_nop 1
	v_addc_co_u32_e32 v15, vcc, 0, v1, vcc
	s_waitcnt lgkmcnt(14)
	global_store_short v[14:15], v18, off offset:512
	s_or_b64 exec, exec, s[0:1]
	s_and_saveexec_b64 s[0:1], s[20:21]
	s_cbranch_execz .LBB41_65
.LBB41_89:
	v_add_co_u32_e32 v14, vcc, 0x1000, v0
	s_nop 1
	v_addc_co_u32_e32 v15, vcc, 0, v1, vcc
	s_waitcnt lgkmcnt(13)
	global_store_short v[14:15], v17, off offset:1024
	s_or_b64 exec, exec, s[0:1]
	s_and_saveexec_b64 s[0:1], s[22:23]
	s_cbranch_execz .LBB41_66
.LBB41_90:
	v_add_co_u32_e32 v14, vcc, 0x1000, v0
	s_nop 1
	v_addc_co_u32_e32 v15, vcc, 0, v1, vcc
	s_waitcnt lgkmcnt(12)
	global_store_short v[14:15], v16, off offset:1536
	s_or_b64 exec, exec, s[0:1]
	s_and_saveexec_b64 s[0:1], s[24:25]
	s_cbranch_execz .LBB41_67
.LBB41_91:
	v_add_co_u32_e32 v14, vcc, 0x1000, v0
	s_nop 1
	v_addc_co_u32_e32 v15, vcc, 0, v1, vcc
	s_waitcnt lgkmcnt(11)
	global_store_short v[14:15], v13, off offset:2048
	s_or_b64 exec, exec, s[0:1]
	s_and_saveexec_b64 s[0:1], s[26:27]
	s_cbranch_execz .LBB41_68
.LBB41_92:
	v_add_co_u32_e32 v14, vcc, 0x1000, v0
	s_nop 1
	v_addc_co_u32_e32 v15, vcc, 0, v1, vcc
	s_waitcnt lgkmcnt(10)
	global_store_short v[14:15], v12, off offset:2560
	s_or_b64 exec, exec, s[0:1]
	s_and_saveexec_b64 s[0:1], s[28:29]
	s_cbranch_execz .LBB41_69
.LBB41_93:
	s_waitcnt lgkmcnt(10)
	v_add_co_u32_e32 v12, vcc, 0x1000, v0
	s_nop 1
	v_addc_co_u32_e32 v13, vcc, 0, v1, vcc
	s_waitcnt lgkmcnt(9)
	global_store_short v[12:13], v11, off offset:3072
	s_or_b64 exec, exec, s[0:1]
	s_and_saveexec_b64 s[0:1], s[30:31]
	s_cbranch_execz .LBB41_70
.LBB41_94:
	s_waitcnt lgkmcnt(10)
	v_add_co_u32_e32 v12, vcc, 0x1000, v0
	s_nop 1
	v_addc_co_u32_e32 v13, vcc, 0, v1, vcc
	s_waitcnt lgkmcnt(8)
	global_store_short v[12:13], v10, off offset:3584
	s_or_b64 exec, exec, s[0:1]
	s_and_saveexec_b64 s[0:1], s[36:37]
	s_cbranch_execz .LBB41_71
.LBB41_95:
	s_waitcnt lgkmcnt(8)
	v_add_co_u32_e32 v10, vcc, 0x2000, v0
	s_nop 1
	v_addc_co_u32_e32 v11, vcc, 0, v1, vcc
	s_waitcnt lgkmcnt(7)
	global_store_short v[10:11], v9, off
	s_or_b64 exec, exec, s[0:1]
	s_and_saveexec_b64 s[0:1], s[38:39]
	s_cbranch_execz .LBB41_72
.LBB41_96:
	s_waitcnt lgkmcnt(8)
	v_add_co_u32_e32 v10, vcc, 0x2000, v0
	s_nop 1
	v_addc_co_u32_e32 v11, vcc, 0, v1, vcc
	s_waitcnt lgkmcnt(6)
	global_store_short v[10:11], v8, off offset:512
	s_or_b64 exec, exec, s[0:1]
	s_and_saveexec_b64 s[0:1], s[40:41]
	s_cbranch_execz .LBB41_73
.LBB41_97:
	s_waitcnt lgkmcnt(6)
	v_add_co_u32_e32 v8, vcc, 0x2000, v0
	s_nop 1
	v_addc_co_u32_e32 v9, vcc, 0, v1, vcc
	s_waitcnt lgkmcnt(5)
	global_store_short v[8:9], v7, off offset:1024
	s_or_b64 exec, exec, s[0:1]
	s_and_saveexec_b64 s[0:1], s[42:43]
	s_cbranch_execz .LBB41_74
.LBB41_98:
	s_waitcnt lgkmcnt(6)
	v_add_co_u32_e32 v8, vcc, 0x2000, v0
	s_nop 1
	v_addc_co_u32_e32 v9, vcc, 0, v1, vcc
	s_waitcnt lgkmcnt(4)
	global_store_short v[8:9], v6, off offset:1536
	s_or_b64 exec, exec, s[0:1]
	s_and_saveexec_b64 s[0:1], s[44:45]
	s_cbranch_execz .LBB41_75
.LBB41_99:
	s_waitcnt lgkmcnt(4)
	v_add_co_u32_e32 v6, vcc, 0x2000, v0
	s_nop 1
	v_addc_co_u32_e32 v7, vcc, 0, v1, vcc
	s_waitcnt lgkmcnt(3)
	global_store_short v[6:7], v5, off offset:2048
	s_or_b64 exec, exec, s[0:1]
	s_and_saveexec_b64 s[0:1], s[46:47]
	s_cbranch_execz .LBB41_76
.LBB41_100:
	s_waitcnt lgkmcnt(4)
	v_add_co_u32_e32 v6, vcc, 0x2000, v0
	s_nop 1
	v_addc_co_u32_e32 v7, vcc, 0, v1, vcc
	s_waitcnt lgkmcnt(2)
	global_store_short v[6:7], v4, off offset:2560
	s_or_b64 exec, exec, s[0:1]
	s_and_saveexec_b64 s[0:1], s[48:49]
	s_cbranch_execz .LBB41_77
.LBB41_101:
	s_waitcnt lgkmcnt(2)
	v_add_co_u32_e32 v4, vcc, 0x2000, v0
	s_nop 1
	v_addc_co_u32_e32 v5, vcc, 0, v1, vcc
	s_waitcnt lgkmcnt(1)
	global_store_short v[4:5], v3, off offset:3072
	s_or_b64 exec, exec, s[0:1]
	s_and_saveexec_b64 s[0:1], s[50:51]
	s_cbranch_execz .LBB41_78
.LBB41_102:
	v_add_co_u32_e32 v0, vcc, 0x2000, v0
	s_nop 1
	v_addc_co_u32_e32 v1, vcc, 0, v1, vcc
	s_waitcnt lgkmcnt(0)
	global_store_short v[0:1], v2, off offset:3584
	s_endpgm
	.section	.rodata,"a",@progbits
	.p2align	6, 0x0
	.amdhsa_kernel _ZN7rocprim17ROCPRIM_304000_NS6detail18single_scan_kernelILb0ENS1_19wrapped_scan_configINS0_14default_configEsEEPKsPsSt10multipliesIsEssEEvT1_mT4_T2_T3_
		.amdhsa_group_segment_fixed_size 12288
		.amdhsa_private_segment_fixed_size 0
		.amdhsa_kernarg_size 36
		.amdhsa_user_sgpr_count 2
		.amdhsa_user_sgpr_dispatch_ptr 0
		.amdhsa_user_sgpr_queue_ptr 0
		.amdhsa_user_sgpr_kernarg_segment_ptr 1
		.amdhsa_user_sgpr_dispatch_id 0
		.amdhsa_user_sgpr_kernarg_preload_length 0
		.amdhsa_user_sgpr_kernarg_preload_offset 0
		.amdhsa_user_sgpr_private_segment_size 0
		.amdhsa_uses_dynamic_stack 0
		.amdhsa_enable_private_segment 0
		.amdhsa_system_sgpr_workgroup_id_x 1
		.amdhsa_system_sgpr_workgroup_id_y 0
		.amdhsa_system_sgpr_workgroup_id_z 0
		.amdhsa_system_sgpr_workgroup_info 0
		.amdhsa_system_vgpr_workitem_id 0
		.amdhsa_next_free_vgpr 30
		.amdhsa_next_free_sgpr 54
		.amdhsa_accum_offset 32
		.amdhsa_reserve_vcc 1
		.amdhsa_float_round_mode_32 0
		.amdhsa_float_round_mode_16_64 0
		.amdhsa_float_denorm_mode_32 3
		.amdhsa_float_denorm_mode_16_64 3
		.amdhsa_dx10_clamp 1
		.amdhsa_ieee_mode 1
		.amdhsa_fp16_overflow 0
		.amdhsa_tg_split 0
		.amdhsa_exception_fp_ieee_invalid_op 0
		.amdhsa_exception_fp_denorm_src 0
		.amdhsa_exception_fp_ieee_div_zero 0
		.amdhsa_exception_fp_ieee_overflow 0
		.amdhsa_exception_fp_ieee_underflow 0
		.amdhsa_exception_fp_ieee_inexact 0
		.amdhsa_exception_int_div_zero 0
	.end_amdhsa_kernel
	.section	.text._ZN7rocprim17ROCPRIM_304000_NS6detail18single_scan_kernelILb0ENS1_19wrapped_scan_configINS0_14default_configEsEEPKsPsSt10multipliesIsEssEEvT1_mT4_T2_T3_,"axG",@progbits,_ZN7rocprim17ROCPRIM_304000_NS6detail18single_scan_kernelILb0ENS1_19wrapped_scan_configINS0_14default_configEsEEPKsPsSt10multipliesIsEssEEvT1_mT4_T2_T3_,comdat
.Lfunc_end41:
	.size	_ZN7rocprim17ROCPRIM_304000_NS6detail18single_scan_kernelILb0ENS1_19wrapped_scan_configINS0_14default_configEsEEPKsPsSt10multipliesIsEssEEvT1_mT4_T2_T3_, .Lfunc_end41-_ZN7rocprim17ROCPRIM_304000_NS6detail18single_scan_kernelILb0ENS1_19wrapped_scan_configINS0_14default_configEsEEPKsPsSt10multipliesIsEssEEvT1_mT4_T2_T3_
                                        ; -- End function
	.section	.AMDGPU.csdata,"",@progbits
; Kernel info:
; codeLenInByte = 3696
; NumSgprs: 60
; NumVgprs: 30
; NumAgprs: 0
; TotalNumVgprs: 30
; ScratchSize: 0
; MemoryBound: 0
; FloatMode: 240
; IeeeMode: 1
; LDSByteSize: 12288 bytes/workgroup (compile time only)
; SGPRBlocks: 7
; VGPRBlocks: 3
; NumSGPRsForWavesPerEU: 60
; NumVGPRsForWavesPerEU: 30
; AccumOffset: 32
; Occupancy: 5
; WaveLimiterHint : 0
; COMPUTE_PGM_RSRC2:SCRATCH_EN: 0
; COMPUTE_PGM_RSRC2:USER_SGPR: 2
; COMPUTE_PGM_RSRC2:TRAP_HANDLER: 0
; COMPUTE_PGM_RSRC2:TGID_X_EN: 1
; COMPUTE_PGM_RSRC2:TGID_Y_EN: 0
; COMPUTE_PGM_RSRC2:TGID_Z_EN: 0
; COMPUTE_PGM_RSRC2:TIDIG_COMP_CNT: 0
; COMPUTE_PGM_RSRC3_GFX90A:ACCUM_OFFSET: 7
; COMPUTE_PGM_RSRC3_GFX90A:TG_SPLIT: 0
	.section	.text._ZN2at6native32tensor_kernel_scan_innermost_dimIsSt10multipliesIsEEEvPT_PKS4_jjjS4_T0_,"axG",@progbits,_ZN2at6native32tensor_kernel_scan_innermost_dimIsSt10multipliesIsEEEvPT_PKS4_jjjS4_T0_,comdat
	.protected	_ZN2at6native32tensor_kernel_scan_innermost_dimIsSt10multipliesIsEEEvPT_PKS4_jjjS4_T0_ ; -- Begin function _ZN2at6native32tensor_kernel_scan_innermost_dimIsSt10multipliesIsEEEvPT_PKS4_jjjS4_T0_
	.globl	_ZN2at6native32tensor_kernel_scan_innermost_dimIsSt10multipliesIsEEEvPT_PKS4_jjjS4_T0_
	.p2align	8
	.type	_ZN2at6native32tensor_kernel_scan_innermost_dimIsSt10multipliesIsEEEvPT_PKS4_jjjS4_T0_,@function
_ZN2at6native32tensor_kernel_scan_innermost_dimIsSt10multipliesIsEEEvPT_PKS4_jjjS4_T0_: ; @_ZN2at6native32tensor_kernel_scan_innermost_dimIsSt10multipliesIsEEEvPT_PKS4_jjjS4_T0_
; %bb.0:
	s_load_dwordx8 s[12:19], s[0:1], 0x0
	v_bfe_u32 v2, v0, 10, 10
	s_waitcnt lgkmcnt(0)
	s_lshl_b32 s3, 2, s18
	v_mul_lo_u32 v1, s3, v2
	s_mul_hi_u32 s4, s16, s17
	s_mov_b32 s20, s16
	v_lshl_add_u32 v18, v1, 1, 0
	s_cmp_lg_u32 s4, 0
	s_mov_b64 s[4:5], -1
	s_cbranch_scc1 .LBB42_26
; %bb.1:
	s_load_dword s6, s[0:1], 0x2c
	s_add_u32 s4, s0, 32
	s_addc_u32 s5, s1, 0
	s_waitcnt lgkmcnt(0)
	s_lshr_b32 s6, s6, 16
	s_mul_i32 s21, s2, s6
	s_cmp_ge_u32 s21, s16
	s_cbranch_scc1 .LBB42_25
; %bb.2:
	s_load_dword s27, s[4:5], 0x0
	s_lshl_b32 s26, 1, s18
	s_cmp_lg_u32 s17, 0
	v_and_b32_e32 v1, 0x3ff, v0
	s_cselect_b64 s[4:5], -1, 0
	v_lshl_add_u32 v3, v1, 1, v18
	v_add_u32_e32 v13, -2, v18
	v_cndmask_b32_e64 v4, 0, 1, s[4:5]
	v_lshl_add_u32 v12, s26, 1, v3
	v_cmp_eq_u32_e64 s[8:9], 0, v1
	v_lshl_add_u32 v14, s3, 1, v13
	s_waitcnt lgkmcnt(0)
	s_mul_i32 s27, s27, s6
	s_add_i32 s28, s18, 1
	v_cmp_ne_u32_e64 s[4:5], 1, v4
	v_mov_b32_e32 v5, 0
	s_branch .LBB42_4
.LBB42_3:                               ;   in Loop: Header=BB42_4 Depth=1
	s_add_i32 s21, s21, s27
	s_cmp_ge_u32 s21, s16
	s_cbranch_scc1 .LBB42_25
.LBB42_4:                               ; =>This Loop Header: Depth=1
                                        ;     Child Loop BB42_7 Depth 2
                                        ;       Child Loop BB42_16 Depth 3
	s_and_b64 vcc, exec, s[4:5]
	s_cbranch_vccnz .LBB42_3
; %bb.5:                                ;   in Loop: Header=BB42_4 Depth=1
	v_add_u32_e32 v10, s21, v2
	v_mul_lo_u32 v4, v10, s17
	v_lshlrev_b64 v[8:9], 1, v[4:5]
	v_lshl_add_u64 v[6:7], s[14:15], 0, v[8:9]
	v_lshl_add_u64 v[8:9], s[12:13], 0, v[8:9]
	v_cmp_gt_u32_e32 vcc, s16, v10
	v_cmp_le_u32_e64 s[6:7], s16, v10
	s_mov_b32 s29, 0
	v_mov_b32_e32 v15, s19
	s_branch .LBB42_7
.LBB42_6:                               ;   in Loop: Header=BB42_7 Depth=2
	s_or_b64 exec, exec, s[22:23]
	ds_read_u16 v15, v14
	s_add_i32 s29, s29, s3
	s_cmp_ge_u32 s29, s17
	s_waitcnt lgkmcnt(0)
	s_barrier
	s_cbranch_scc1 .LBB42_3
.LBB42_7:                               ;   Parent Loop BB42_4 Depth=1
                                        ; =>  This Loop Header: Depth=2
                                        ;       Child Loop BB42_16 Depth 3
	v_add_u32_e32 v4, s29, v1
	v_add_u32_e32 v10, s26, v4
	s_and_saveexec_b64 s[22:23], vcc
	s_cbranch_execz .LBB42_14
; %bb.8:                                ;   in Loop: Header=BB42_7 Depth=2
	v_cmp_gt_u32_e64 s[10:11], s17, v4
	v_mov_b32_e32 v11, s19
	s_and_saveexec_b64 s[24:25], s[10:11]
	s_cbranch_execz .LBB42_10
; %bb.9:                                ;   in Loop: Header=BB42_7 Depth=2
	v_lshl_add_u64 v[16:17], v[4:5], 1, v[6:7]
	global_load_ushort v11, v[16:17], off
.LBB42_10:                              ;   in Loop: Header=BB42_7 Depth=2
	s_or_b64 exec, exec, s[24:25]
	s_waitcnt vmcnt(0)
	ds_write_b16 v3, v11
	v_cmp_gt_u32_e64 s[10:11], s17, v10
	v_mov_b32_e32 v11, s19
	s_and_saveexec_b64 s[24:25], s[10:11]
	s_cbranch_execz .LBB42_12
; %bb.11:                               ;   in Loop: Header=BB42_7 Depth=2
	v_mov_b32_e32 v11, v5
	v_lshl_add_u64 v[16:17], v[10:11], 1, v[6:7]
	global_load_ushort v11, v[16:17], off
.LBB42_12:                              ;   in Loop: Header=BB42_7 Depth=2
	s_or_b64 exec, exec, s[24:25]
	s_waitcnt vmcnt(0)
	ds_write_b16 v12, v11
	s_and_b64 exec, exec, s[8:9]
	s_cbranch_execz .LBB42_14
; %bb.13:                               ;   in Loop: Header=BB42_7 Depth=2
	ds_read_u16 v11, v18
	s_waitcnt lgkmcnt(0)
	v_mul_lo_u16_e32 v11, v11, v15
	ds_write_b16 v18, v11
.LBB42_14:                              ;   in Loop: Header=BB42_7 Depth=2
	s_or_b64 exec, exec, s[22:23]
	s_mov_b64 s[22:23], 0
	v_mov_b32_e32 v11, 0
	s_waitcnt lgkmcnt(0)
	s_barrier
	s_branch .LBB42_16
.LBB42_15:                              ;   in Loop: Header=BB42_16 Depth=3
	s_or_b64 exec, exec, s[10:11]
	v_cmp_eq_u32_e64 s[10:11], s28, v11
	s_or_b64 s[22:23], s[10:11], s[22:23]
	s_waitcnt lgkmcnt(0)
	s_barrier
	s_andn2_b64 exec, exec, s[22:23]
	s_cbranch_execz .LBB42_20
.LBB42_16:                              ;   Parent Loop BB42_4 Depth=1
                                        ;     Parent Loop BB42_7 Depth=2
                                        ; =>    This Inner Loop Header: Depth=3
	v_add_u32_e32 v15, 1, v11
	s_and_saveexec_b64 s[10:11], s[6:7]
	s_xor_b64 s[10:11], exec, s[10:11]
; %bb.17:                               ;   in Loop: Header=BB42_16 Depth=3
	v_add_u32_e32 v11, 1, v11
                                        ; implicit-def: $vgpr15
; %bb.18:                               ;   in Loop: Header=BB42_16 Depth=3
	s_andn2_saveexec_b64 s[10:11], s[10:11]
	s_cbranch_execz .LBB42_15
; %bb.19:                               ;   in Loop: Header=BB42_16 Depth=3
	v_lshlrev_b32_e64 v16, v11, 1
	v_lshrrev_b32_e32 v17, v11, v1
	v_bfm_b32 v11, v11, 0
	v_lshl_or_b32 v16, v17, v15, v16
	v_and_b32_e32 v11, v11, v1
	v_lshlrev_b32_e32 v16, 1, v16
	v_lshlrev_b32_e32 v11, 1, v11
	v_add3_u32 v11, v18, v16, v11
	v_add_u32_e32 v16, v13, v16
	ds_read_u16 v17, v11
	ds_read_u16 v16, v16
	s_waitcnt lgkmcnt(0)
	v_mul_lo_u16_e32 v16, v16, v17
	ds_write_b16 v11, v16
	v_mov_b32_e32 v11, v15
	s_branch .LBB42_15
.LBB42_20:                              ;   in Loop: Header=BB42_7 Depth=2
	s_or_b64 exec, exec, s[22:23]
	s_and_saveexec_b64 s[22:23], vcc
	s_cbranch_execz .LBB42_6
; %bb.21:                               ;   in Loop: Header=BB42_7 Depth=2
	v_cmp_gt_u32_e64 s[10:11], s17, v4
	s_and_saveexec_b64 s[24:25], s[10:11]
	s_cbranch_execz .LBB42_23
; %bb.22:                               ;   in Loop: Header=BB42_7 Depth=2
	ds_read_u16 v11, v3
	v_lshl_add_u64 v[16:17], v[4:5], 1, v[8:9]
	s_waitcnt lgkmcnt(0)
	global_store_short v[16:17], v11, off
.LBB42_23:                              ;   in Loop: Header=BB42_7 Depth=2
	s_or_b64 exec, exec, s[24:25]
	v_cmp_gt_u32_e64 s[10:11], s17, v10
	s_and_b64 exec, exec, s[10:11]
	s_cbranch_execz .LBB42_6
; %bb.24:                               ;   in Loop: Header=BB42_7 Depth=2
	ds_read_u16 v4, v12
	v_mov_b32_e32 v11, v5
	v_lshl_add_u64 v[10:11], v[10:11], 1, v[8:9]
	s_waitcnt lgkmcnt(0)
	global_store_short v[10:11], v4, off
	s_branch .LBB42_6
.LBB42_25:
	s_mov_b64 s[4:5], 0
.LBB42_26:
	s_andn2_b64 vcc, exec, s[4:5]
	s_cbranch_vccnz .LBB42_53
; %bb.27:
	s_load_dword s3, s[0:1], 0x2c
	s_add_u32 s4, s0, 32
	s_mov_b32 s21, 0
	s_addc_u32 s5, s1, 0
	v_mov_b64_e32 v[4:5], s[20:21]
	s_waitcnt lgkmcnt(0)
	s_lshr_b32 s0, s3, 16
	s_mul_hi_u32 s9, s0, s2
	s_mul_i32 s8, s0, s2
	v_cmp_ge_u64_e32 vcc, s[8:9], v[4:5]
	s_cbranch_vccnz .LBB42_53
; %bb.28:
	s_lshl_b32 s10, 1, s18
	s_load_dword s4, s[4:5], 0x0
	s_and_b32 s6, 0xffff, s0
	s_ashr_i32 s11, s10, 31
	s_cmp_lg_u32 s17, 0
	s_mov_b32 s22, s17
	v_and_b32_e32 v0, 0x3ff, v0
	s_cselect_b64 s[2:3], -1, 0
	s_lshl_b64 s[16:17], s[10:11], 1
	v_mov_b32_e32 v3, 0
	v_lshl_add_u32 v19, v0, 1, v18
	s_lshl_b32 s5, s16, 1
	v_cndmask_b32_e64 v4, 0, 1, s[2:3]
	s_mov_b32 s23, s21
	v_mov_b32_e32 v1, v3
	v_lshl_add_u32 v20, s10, 1, v19
	v_cmp_eq_u32_e64 s[0:1], 0, v0
	v_add3_u32 v21, v18, s5, -2
	s_waitcnt lgkmcnt(0)
	s_mul_i32 s33, s4, s6
	s_add_i32 s18, s18, 1
	v_cmp_ne_u32_e64 s[2:3], 1, v4
	v_mov_b64_e32 v[4:5], s[20:21]
	s_branch .LBB42_30
.LBB42_29:                              ;   in Loop: Header=BB42_30 Depth=1
	s_add_u32 s8, s8, s33
	s_addc_u32 s9, s9, 0
	v_cmp_ge_u64_e32 vcc, s[8:9], v[4:5]
	s_cbranch_vccnz .LBB42_53
.LBB42_30:                              ; =>This Loop Header: Depth=1
                                        ;     Child Loop BB42_33 Depth 2
                                        ;       Child Loop BB42_43 Depth 3
	s_and_b64 vcc, exec, s[2:3]
	s_cbranch_vccnz .LBB42_29
; %bb.31:                               ;   in Loop: Header=BB42_30 Depth=1
	v_lshl_add_u64 v[10:11], s[8:9], 0, v[2:3]
	v_mad_u64_u32 v[6:7], s[4:5], v10, s22, 0
	v_mov_b32_e32 v8, v7
	v_mad_u64_u32 v[8:9], s[4:5], v11, s22, v[8:9]
	v_mov_b32_e32 v7, v8
	v_lshlrev_b64 v[8:9], 1, v[6:7]
	v_lshl_add_u64 v[6:7], s[14:15], 0, v[8:9]
	v_lshl_add_u64 v[8:9], s[12:13], 0, v[8:9]
	v_cmp_gt_u64_e64 s[4:5], s[20:21], v[10:11]
	v_cmp_le_u64_e64 s[6:7], s[20:21], v[10:11]
	s_mov_b64 s[24:25], 0
	v_mov_b32_e32 v14, s19
	s_branch .LBB42_33
.LBB42_32:                              ;   in Loop: Header=BB42_33 Depth=2
	s_or_b64 exec, exec, s[26:27]
	ds_read_u16 v14, v21
	s_add_u32 s24, s24, s16
	s_addc_u32 s25, s25, s17
	v_mov_b64_e32 v[10:11], s[22:23]
	v_cmp_ge_u64_e32 vcc, s[24:25], v[10:11]
	s_waitcnt lgkmcnt(0)
	s_barrier
	s_cbranch_vccnz .LBB42_29
.LBB42_33:                              ;   Parent Loop BB42_30 Depth=1
                                        ; =>  This Loop Header: Depth=2
                                        ;       Child Loop BB42_43 Depth 3
	v_lshl_add_u64 v[12:13], s[24:25], 0, v[0:1]
	v_lshl_add_u64 v[10:11], v[12:13], 0, s[10:11]
	s_and_saveexec_b64 s[26:27], s[4:5]
	s_cbranch_execz .LBB42_40
; %bb.34:                               ;   in Loop: Header=BB42_33 Depth=2
	v_cmp_gt_u64_e32 vcc, s[22:23], v[12:13]
	v_mov_b32_e32 v15, s19
	s_and_saveexec_b64 s[28:29], vcc
	s_cbranch_execz .LBB42_36
; %bb.35:                               ;   in Loop: Header=BB42_33 Depth=2
	v_lshl_add_u64 v[16:17], v[12:13], 1, v[6:7]
	global_load_ushort v15, v[16:17], off
.LBB42_36:                              ;   in Loop: Header=BB42_33 Depth=2
	s_or_b64 exec, exec, s[28:29]
	s_waitcnt vmcnt(0)
	ds_write_b16 v19, v15
	v_cmp_gt_u64_e32 vcc, s[22:23], v[10:11]
	v_mov_b32_e32 v15, s19
	s_and_saveexec_b64 s[28:29], vcc
	s_cbranch_execz .LBB42_38
; %bb.37:                               ;   in Loop: Header=BB42_33 Depth=2
	v_lshl_add_u64 v[16:17], v[10:11], 1, v[6:7]
	global_load_ushort v15, v[16:17], off
.LBB42_38:                              ;   in Loop: Header=BB42_33 Depth=2
	s_or_b64 exec, exec, s[28:29]
	s_waitcnt vmcnt(0)
	ds_write_b16 v20, v15
	s_and_b64 exec, exec, s[0:1]
	s_cbranch_execz .LBB42_40
; %bb.39:                               ;   in Loop: Header=BB42_33 Depth=2
	ds_read_u16 v15, v18
	s_waitcnt lgkmcnt(0)
	v_mul_lo_u16_e32 v14, v15, v14
	ds_write_b16 v18, v14
.LBB42_40:                              ;   in Loop: Header=BB42_33 Depth=2
	s_or_b64 exec, exec, s[26:27]
	s_mov_b64 s[26:27], 0
	v_mov_b32_e32 v23, 0
	s_waitcnt lgkmcnt(0)
	s_barrier
	s_branch .LBB42_43
.LBB42_41:                              ;   in Loop: Header=BB42_43 Depth=3
	s_or_b64 exec, exec, s[30:31]
	v_lshrrev_b32_e32 v15, v23, v0
	v_lshl_or_b32 v14, v15, v22, v14
	v_lshl_add_u32 v14, v14, 1, v18
	v_lshl_add_u32 v15, v16, 1, v14
	v_add_u32_e32 v14, -2, v14
	ds_read_u16 v16, v15
	ds_read_u16 v14, v14
	s_waitcnt lgkmcnt(0)
	v_mul_lo_u16_e32 v14, v14, v16
	ds_write_b16 v15, v14
.LBB42_42:                              ;   in Loop: Header=BB42_43 Depth=3
	s_or_b64 exec, exec, s[28:29]
	v_cmp_eq_u32_e32 vcc, s18, v22
	s_or_b64 s[26:27], vcc, s[26:27]
	v_mov_b32_e32 v23, v22
	s_waitcnt lgkmcnt(0)
	s_barrier
	s_andn2_b64 exec, exec, s[26:27]
	s_cbranch_execz .LBB42_48
.LBB42_43:                              ;   Parent Loop BB42_30 Depth=1
                                        ;     Parent Loop BB42_33 Depth=2
                                        ; =>    This Inner Loop Header: Depth=3
	v_add_u32_e32 v22, 1, v23
	s_and_saveexec_b64 s[28:29], s[6:7]
	s_xor_b64 s[28:29], exec, s[28:29]
; %bb.44:                               ;   in Loop: Header=BB42_43 Depth=3
	v_add_u32_e32 v22, 1, v23
                                        ; implicit-def: $vgpr23
; %bb.45:                               ;   in Loop: Header=BB42_43 Depth=3
	s_andn2_saveexec_b64 s[28:29], s[28:29]
	s_cbranch_execz .LBB42_42
; %bb.46:                               ;   in Loop: Header=BB42_43 Depth=3
	v_lshlrev_b32_e64 v14, v23, 1
	v_ashrrev_i32_e32 v15, 31, v14
	v_cmp_ge_u64_e32 vcc, v[0:1], v[14:15]
	v_mov_b64_e32 v[16:17], v[0:1]
	s_and_saveexec_b64 s[30:31], vcc
	s_cbranch_execz .LBB42_41
; %bb.47:                               ;   in Loop: Header=BB42_43 Depth=3
	v_cvt_f32_u32_e32 v15, v14
	v_sub_u32_e32 v16, 0, v14
	v_rcp_iflag_f32_e32 v15, v15
	s_nop 0
	v_mul_f32_e32 v15, 0x4f7ffffe, v15
	v_cvt_u32_f32_e32 v15, v15
	v_mul_lo_u32 v16, v16, v15
	v_mul_hi_u32 v16, v15, v16
	v_add_u32_e32 v15, v15, v16
	v_mul_hi_u32 v15, v0, v15
	v_mul_lo_u32 v15, v15, v14
	v_sub_u32_e32 v15, v0, v15
	v_sub_u32_e32 v16, v15, v14
	v_cmp_ge_u32_e32 vcc, v15, v14
	s_nop 1
	v_cndmask_b32_e32 v15, v15, v16, vcc
	v_sub_u32_e32 v16, v15, v14
	v_cmp_ge_u32_e32 vcc, v15, v14
	s_nop 1
	v_cndmask_b32_e32 v16, v15, v16, vcc
	s_branch .LBB42_41
.LBB42_48:                              ;   in Loop: Header=BB42_33 Depth=2
	s_or_b64 exec, exec, s[26:27]
	s_and_saveexec_b64 s[26:27], s[4:5]
	s_cbranch_execz .LBB42_32
; %bb.49:                               ;   in Loop: Header=BB42_33 Depth=2
	v_cmp_gt_u64_e32 vcc, s[22:23], v[12:13]
	s_and_saveexec_b64 s[28:29], vcc
	s_cbranch_execz .LBB42_51
; %bb.50:                               ;   in Loop: Header=BB42_33 Depth=2
	ds_read_u16 v14, v19
	v_lshl_add_u64 v[12:13], v[12:13], 1, v[8:9]
	s_waitcnt lgkmcnt(0)
	global_store_short v[12:13], v14, off
.LBB42_51:                              ;   in Loop: Header=BB42_33 Depth=2
	s_or_b64 exec, exec, s[28:29]
	v_cmp_gt_u64_e32 vcc, s[22:23], v[10:11]
	s_and_b64 exec, exec, vcc
	s_cbranch_execz .LBB42_32
; %bb.52:                               ;   in Loop: Header=BB42_33 Depth=2
	ds_read_u16 v12, v20
	v_lshl_add_u64 v[10:11], v[10:11], 1, v[8:9]
	s_waitcnt lgkmcnt(0)
	global_store_short v[10:11], v12, off
	s_branch .LBB42_32
.LBB42_53:
	s_endpgm
	.section	.rodata,"a",@progbits
	.p2align	6, 0x0
	.amdhsa_kernel _ZN2at6native32tensor_kernel_scan_innermost_dimIsSt10multipliesIsEEEvPT_PKS4_jjjS4_T0_
		.amdhsa_group_segment_fixed_size 0
		.amdhsa_private_segment_fixed_size 0
		.amdhsa_kernarg_size 288
		.amdhsa_user_sgpr_count 2
		.amdhsa_user_sgpr_dispatch_ptr 0
		.amdhsa_user_sgpr_queue_ptr 0
		.amdhsa_user_sgpr_kernarg_segment_ptr 1
		.amdhsa_user_sgpr_dispatch_id 0
		.amdhsa_user_sgpr_kernarg_preload_length 0
		.amdhsa_user_sgpr_kernarg_preload_offset 0
		.amdhsa_user_sgpr_private_segment_size 0
		.amdhsa_uses_dynamic_stack 0
		.amdhsa_enable_private_segment 0
		.amdhsa_system_sgpr_workgroup_id_x 1
		.amdhsa_system_sgpr_workgroup_id_y 0
		.amdhsa_system_sgpr_workgroup_id_z 0
		.amdhsa_system_sgpr_workgroup_info 0
		.amdhsa_system_vgpr_workitem_id 1
		.amdhsa_next_free_vgpr 24
		.amdhsa_next_free_sgpr 34
		.amdhsa_accum_offset 24
		.amdhsa_reserve_vcc 1
		.amdhsa_float_round_mode_32 0
		.amdhsa_float_round_mode_16_64 0
		.amdhsa_float_denorm_mode_32 3
		.amdhsa_float_denorm_mode_16_64 3
		.amdhsa_dx10_clamp 1
		.amdhsa_ieee_mode 1
		.amdhsa_fp16_overflow 0
		.amdhsa_tg_split 0
		.amdhsa_exception_fp_ieee_invalid_op 0
		.amdhsa_exception_fp_denorm_src 0
		.amdhsa_exception_fp_ieee_div_zero 0
		.amdhsa_exception_fp_ieee_overflow 0
		.amdhsa_exception_fp_ieee_underflow 0
		.amdhsa_exception_fp_ieee_inexact 0
		.amdhsa_exception_int_div_zero 0
	.end_amdhsa_kernel
	.section	.text._ZN2at6native32tensor_kernel_scan_innermost_dimIsSt10multipliesIsEEEvPT_PKS4_jjjS4_T0_,"axG",@progbits,_ZN2at6native32tensor_kernel_scan_innermost_dimIsSt10multipliesIsEEEvPT_PKS4_jjjS4_T0_,comdat
.Lfunc_end42:
	.size	_ZN2at6native32tensor_kernel_scan_innermost_dimIsSt10multipliesIsEEEvPT_PKS4_jjjS4_T0_, .Lfunc_end42-_ZN2at6native32tensor_kernel_scan_innermost_dimIsSt10multipliesIsEEEvPT_PKS4_jjjS4_T0_
                                        ; -- End function
	.section	.AMDGPU.csdata,"",@progbits
; Kernel info:
; codeLenInByte = 1624
; NumSgprs: 40
; NumVgprs: 24
; NumAgprs: 0
; TotalNumVgprs: 24
; ScratchSize: 0
; MemoryBound: 0
; FloatMode: 240
; IeeeMode: 1
; LDSByteSize: 0 bytes/workgroup (compile time only)
; SGPRBlocks: 4
; VGPRBlocks: 2
; NumSGPRsForWavesPerEU: 40
; NumVGPRsForWavesPerEU: 24
; AccumOffset: 24
; Occupancy: 8
; WaveLimiterHint : 0
; COMPUTE_PGM_RSRC2:SCRATCH_EN: 0
; COMPUTE_PGM_RSRC2:USER_SGPR: 2
; COMPUTE_PGM_RSRC2:TRAP_HANDLER: 0
; COMPUTE_PGM_RSRC2:TGID_X_EN: 1
; COMPUTE_PGM_RSRC2:TGID_Y_EN: 0
; COMPUTE_PGM_RSRC2:TGID_Z_EN: 0
; COMPUTE_PGM_RSRC2:TIDIG_COMP_CNT: 1
; COMPUTE_PGM_RSRC3_GFX90A:ACCUM_OFFSET: 5
; COMPUTE_PGM_RSRC3_GFX90A:TG_SPLIT: 0
	.section	.text._ZN2at6native28tensor_kernel_scan_outer_dimIsjSt10multipliesIsEEEvPT_PKS4_jjjS4_T1_,"axG",@progbits,_ZN2at6native28tensor_kernel_scan_outer_dimIsjSt10multipliesIsEEEvPT_PKS4_jjjS4_T1_,comdat
	.protected	_ZN2at6native28tensor_kernel_scan_outer_dimIsjSt10multipliesIsEEEvPT_PKS4_jjjS4_T1_ ; -- Begin function _ZN2at6native28tensor_kernel_scan_outer_dimIsjSt10multipliesIsEEEvPT_PKS4_jjjS4_T1_
	.globl	_ZN2at6native28tensor_kernel_scan_outer_dimIsjSt10multipliesIsEEEvPT_PKS4_jjjS4_T1_
	.p2align	8
	.type	_ZN2at6native28tensor_kernel_scan_outer_dimIsjSt10multipliesIsEEEvPT_PKS4_jjjS4_T1_,@function
_ZN2at6native28tensor_kernel_scan_outer_dimIsjSt10multipliesIsEEEvPT_PKS4_jjjS4_T1_: ; @_ZN2at6native28tensor_kernel_scan_outer_dimIsjSt10multipliesIsEEEvPT_PKS4_jjjS4_T1_
; %bb.0:
	s_load_dwordx4 s[8:11], s[0:1], 0x10
	s_waitcnt lgkmcnt(0)
	s_cmp_ge_u32 s2, s8
	s_cbranch_scc1 .LBB43_9
; %bb.1:
	s_load_dword s4, s[0:1], 0x2c
	s_load_dwordx4 s[12:15], s[0:1], 0x0
	s_load_dword s26, s[0:1], 0x20
	s_add_u32 s6, s0, 32
	s_addc_u32 s7, s1, 0
	s_waitcnt lgkmcnt(0)
	s_and_b32 s27, s4, 0xffff
	s_mul_i32 s3, s3, s27
	s_cmp_lg_u32 s10, 0
	v_add_u32_e32 v4, s3, v0
	s_mul_i32 s3, s2, s10
	s_cselect_b64 s[4:5], -1, 0
	s_mov_b32 s17, 0
	s_mov_b32 s16, s9
	s_mul_i32 s20, s3, s9
	s_mul_i32 s3, s26, s10
	v_cndmask_b32_e64 v0, 0, 1, s[4:5]
	v_cmp_gt_u32_e64 s[0:1], s9, v4
	s_mul_i32 s3, s3, s9
	s_lshl_b64 s[18:19], s[16:17], 1
	v_cmp_ne_u32_e64 s[4:5], 1, v0
	v_mov_b32_e32 v1, 0
	s_mov_b32 s16, s20
	s_branch .LBB43_3
.LBB43_2:                               ;   in Loop: Header=BB43_3 Depth=1
	s_or_b64 exec, exec, s[20:21]
	s_add_i32 s2, s26, s2
	s_add_i32 s16, s16, s3
	s_cmp_ge_u32 s2, s8
	s_cbranch_scc1 .LBB43_9
.LBB43_3:                               ; =>This Loop Header: Depth=1
                                        ;     Child Loop BB43_6 Depth 2
                                        ;       Child Loop BB43_8 Depth 3
	s_and_saveexec_b64 s[20:21], s[0:1]
	s_cbranch_execz .LBB43_2
; %bb.4:                                ;   in Loop: Header=BB43_3 Depth=1
	s_load_dword s28, s[6:7], 0x4
	s_lshl_b64 s[22:23], s[16:17], 1
	s_mov_b64 s[24:25], 0
	v_mov_b32_e32 v0, v4
	s_waitcnt lgkmcnt(0)
	s_mul_i32 s28, s28, s27
	s_branch .LBB43_6
.LBB43_5:                               ;   in Loop: Header=BB43_6 Depth=2
	v_add_u32_e32 v0, s28, v0
	v_cmp_le_u32_e32 vcc, s9, v0
	s_or_b64 s[24:25], vcc, s[24:25]
	s_andn2_b64 exec, exec, s[24:25]
	s_cbranch_execz .LBB43_2
.LBB43_6:                               ;   Parent Loop BB43_3 Depth=1
                                        ; =>  This Loop Header: Depth=2
                                        ;       Child Loop BB43_8 Depth 3
	s_and_b64 vcc, exec, s[4:5]
	s_cbranch_vccnz .LBB43_5
; %bb.7:                                ;   in Loop: Header=BB43_6 Depth=2
	v_lshl_add_u64 v[2:3], v[0:1], 1, s[22:23]
	v_mov_b32_e32 v5, s11
	s_mov_b32 s29, s10
.LBB43_8:                               ;   Parent Loop BB43_3 Depth=1
                                        ;     Parent Loop BB43_6 Depth=2
                                        ; =>    This Inner Loop Header: Depth=3
	v_lshl_add_u64 v[6:7], s[14:15], 0, v[2:3]
	global_load_ushort v8, v[6:7], off
	s_add_i32 s29, s29, -1
	v_lshl_add_u64 v[6:7], s[12:13], 0, v[2:3]
	v_lshl_add_u64 v[2:3], v[2:3], 0, s[18:19]
	s_cmp_eq_u32 s29, 0
	s_waitcnt vmcnt(0)
	v_mul_lo_u16_e32 v5, v8, v5
	global_store_short v[6:7], v5, off
	s_cbranch_scc0 .LBB43_8
	s_branch .LBB43_5
.LBB43_9:
	s_endpgm
	.section	.rodata,"a",@progbits
	.p2align	6, 0x0
	.amdhsa_kernel _ZN2at6native28tensor_kernel_scan_outer_dimIsjSt10multipliesIsEEEvPT_PKS4_jjjS4_T1_
		.amdhsa_group_segment_fixed_size 0
		.amdhsa_private_segment_fixed_size 0
		.amdhsa_kernarg_size 288
		.amdhsa_user_sgpr_count 2
		.amdhsa_user_sgpr_dispatch_ptr 0
		.amdhsa_user_sgpr_queue_ptr 0
		.amdhsa_user_sgpr_kernarg_segment_ptr 1
		.amdhsa_user_sgpr_dispatch_id 0
		.amdhsa_user_sgpr_kernarg_preload_length 0
		.amdhsa_user_sgpr_kernarg_preload_offset 0
		.amdhsa_user_sgpr_private_segment_size 0
		.amdhsa_uses_dynamic_stack 0
		.amdhsa_enable_private_segment 0
		.amdhsa_system_sgpr_workgroup_id_x 1
		.amdhsa_system_sgpr_workgroup_id_y 1
		.amdhsa_system_sgpr_workgroup_id_z 0
		.amdhsa_system_sgpr_workgroup_info 0
		.amdhsa_system_vgpr_workitem_id 0
		.amdhsa_next_free_vgpr 9
		.amdhsa_next_free_sgpr 30
		.amdhsa_accum_offset 12
		.amdhsa_reserve_vcc 1
		.amdhsa_float_round_mode_32 0
		.amdhsa_float_round_mode_16_64 0
		.amdhsa_float_denorm_mode_32 3
		.amdhsa_float_denorm_mode_16_64 3
		.amdhsa_dx10_clamp 1
		.amdhsa_ieee_mode 1
		.amdhsa_fp16_overflow 0
		.amdhsa_tg_split 0
		.amdhsa_exception_fp_ieee_invalid_op 0
		.amdhsa_exception_fp_denorm_src 0
		.amdhsa_exception_fp_ieee_div_zero 0
		.amdhsa_exception_fp_ieee_overflow 0
		.amdhsa_exception_fp_ieee_underflow 0
		.amdhsa_exception_fp_ieee_inexact 0
		.amdhsa_exception_int_div_zero 0
	.end_amdhsa_kernel
	.section	.text._ZN2at6native28tensor_kernel_scan_outer_dimIsjSt10multipliesIsEEEvPT_PKS4_jjjS4_T1_,"axG",@progbits,_ZN2at6native28tensor_kernel_scan_outer_dimIsjSt10multipliesIsEEEvPT_PKS4_jjjS4_T1_,comdat
.Lfunc_end43:
	.size	_ZN2at6native28tensor_kernel_scan_outer_dimIsjSt10multipliesIsEEEvPT_PKS4_jjjS4_T1_, .Lfunc_end43-_ZN2at6native28tensor_kernel_scan_outer_dimIsjSt10multipliesIsEEEvPT_PKS4_jjjS4_T1_
                                        ; -- End function
	.section	.AMDGPU.csdata,"",@progbits
; Kernel info:
; codeLenInByte = 316
; NumSgprs: 36
; NumVgprs: 9
; NumAgprs: 0
; TotalNumVgprs: 9
; ScratchSize: 0
; MemoryBound: 0
; FloatMode: 240
; IeeeMode: 1
; LDSByteSize: 0 bytes/workgroup (compile time only)
; SGPRBlocks: 4
; VGPRBlocks: 1
; NumSGPRsForWavesPerEU: 36
; NumVGPRsForWavesPerEU: 9
; AccumOffset: 12
; Occupancy: 8
; WaveLimiterHint : 0
; COMPUTE_PGM_RSRC2:SCRATCH_EN: 0
; COMPUTE_PGM_RSRC2:USER_SGPR: 2
; COMPUTE_PGM_RSRC2:TRAP_HANDLER: 0
; COMPUTE_PGM_RSRC2:TGID_X_EN: 1
; COMPUTE_PGM_RSRC2:TGID_Y_EN: 1
; COMPUTE_PGM_RSRC2:TGID_Z_EN: 0
; COMPUTE_PGM_RSRC2:TIDIG_COMP_CNT: 0
; COMPUTE_PGM_RSRC3_GFX90A:ACCUM_OFFSET: 2
; COMPUTE_PGM_RSRC3_GFX90A:TG_SPLIT: 0
	.section	.text._ZN2at6native28tensor_kernel_scan_outer_dimIsmSt10multipliesIsEEEvPT_PKS4_jjjS4_T1_,"axG",@progbits,_ZN2at6native28tensor_kernel_scan_outer_dimIsmSt10multipliesIsEEEvPT_PKS4_jjjS4_T1_,comdat
	.protected	_ZN2at6native28tensor_kernel_scan_outer_dimIsmSt10multipliesIsEEEvPT_PKS4_jjjS4_T1_ ; -- Begin function _ZN2at6native28tensor_kernel_scan_outer_dimIsmSt10multipliesIsEEEvPT_PKS4_jjjS4_T1_
	.globl	_ZN2at6native28tensor_kernel_scan_outer_dimIsmSt10multipliesIsEEEvPT_PKS4_jjjS4_T1_
	.p2align	8
	.type	_ZN2at6native28tensor_kernel_scan_outer_dimIsmSt10multipliesIsEEEvPT_PKS4_jjjS4_T1_,@function
_ZN2at6native28tensor_kernel_scan_outer_dimIsmSt10multipliesIsEEEvPT_PKS4_jjjS4_T1_: ; @_ZN2at6native28tensor_kernel_scan_outer_dimIsmSt10multipliesIsEEEvPT_PKS4_jjjS4_T1_
; %bb.0:
	s_load_dwordx4 s[8:11], s[0:1], 0x10
	s_waitcnt lgkmcnt(0)
	s_cmp_ge_u32 s2, s8
	s_cbranch_scc1 .LBB44_9
; %bb.1:
	s_load_dword s4, s[0:1], 0x2c
	s_load_dwordx4 s[12:15], s[0:1], 0x0
	s_load_dword s26, s[0:1], 0x20
	s_add_u32 s6, s0, 32
	s_addc_u32 s7, s1, 0
	s_waitcnt lgkmcnt(0)
	s_and_b32 s27, s4, 0xffff
	s_cmp_lg_u32 s10, 0
	s_mul_i32 s3, s3, s27
	s_cselect_b64 s[20:21], -1, 0
	v_add_u32_e32 v4, s3, v0
	s_mov_b32 s5, 0
	s_mov_b32 s4, s9
	s_mul_hi_u32 s17, s10, s9
	s_mul_i32 s16, s10, s9
	v_cndmask_b32_e64 v0, 0, 1, s[20:21]
	v_cmp_gt_u32_e64 s[0:1], s9, v4
	s_lshl_b64 s[16:17], s[16:17], 1
	s_lshl_b64 s[18:19], s[4:5], 1
	v_cmp_ne_u32_e64 s[4:5], 1, v0
	v_mov_b32_e32 v1, 0
	s_branch .LBB44_3
.LBB44_2:                               ;   in Loop: Header=BB44_3 Depth=1
	s_or_b64 exec, exec, s[20:21]
	s_add_i32 s2, s2, s26
	s_cmp_ge_u32 s2, s8
	s_cbranch_scc1 .LBB44_9
.LBB44_3:                               ; =>This Loop Header: Depth=1
                                        ;     Child Loop BB44_6 Depth 2
                                        ;       Child Loop BB44_8 Depth 3
	s_and_saveexec_b64 s[20:21], s[0:1]
	s_cbranch_execz .LBB44_2
; %bb.4:                                ;   in Loop: Header=BB44_3 Depth=1
	s_load_dword s3, s[6:7], 0x4
	s_mul_i32 s23, s17, s2
	s_mul_hi_u32 s24, s16, s2
	s_mul_i32 s22, s16, s2
	s_add_i32 s23, s24, s23
	s_waitcnt lgkmcnt(0)
	s_mul_i32 s3, s3, s27
	s_mov_b64 s[24:25], 0
	v_mov_b32_e32 v0, v4
	s_branch .LBB44_6
.LBB44_5:                               ;   in Loop: Header=BB44_6 Depth=2
	v_add_u32_e32 v0, s3, v0
	v_cmp_le_u32_e32 vcc, s9, v0
	s_or_b64 s[24:25], vcc, s[24:25]
	s_andn2_b64 exec, exec, s[24:25]
	s_cbranch_execz .LBB44_2
.LBB44_6:                               ;   Parent Loop BB44_3 Depth=1
                                        ; =>  This Loop Header: Depth=2
                                        ;       Child Loop BB44_8 Depth 3
	s_and_b64 vcc, exec, s[4:5]
	s_cbranch_vccnz .LBB44_5
; %bb.7:                                ;   in Loop: Header=BB44_6 Depth=2
	v_lshl_add_u64 v[2:3], v[0:1], 1, s[22:23]
	v_mov_b32_e32 v5, s11
	s_mov_b32 s28, s10
.LBB44_8:                               ;   Parent Loop BB44_3 Depth=1
                                        ;     Parent Loop BB44_6 Depth=2
                                        ; =>    This Inner Loop Header: Depth=3
	v_lshl_add_u64 v[6:7], s[14:15], 0, v[2:3]
	global_load_ushort v8, v[6:7], off
	s_add_i32 s28, s28, -1
	v_lshl_add_u64 v[6:7], s[12:13], 0, v[2:3]
	v_lshl_add_u64 v[2:3], v[2:3], 0, s[18:19]
	s_cmp_eq_u32 s28, 0
	s_waitcnt vmcnt(0)
	v_mul_lo_u16_e32 v5, v8, v5
	global_store_short v[6:7], v5, off
	s_cbranch_scc0 .LBB44_8
	s_branch .LBB44_5
.LBB44_9:
	s_endpgm
	.section	.rodata,"a",@progbits
	.p2align	6, 0x0
	.amdhsa_kernel _ZN2at6native28tensor_kernel_scan_outer_dimIsmSt10multipliesIsEEEvPT_PKS4_jjjS4_T1_
		.amdhsa_group_segment_fixed_size 0
		.amdhsa_private_segment_fixed_size 0
		.amdhsa_kernarg_size 288
		.amdhsa_user_sgpr_count 2
		.amdhsa_user_sgpr_dispatch_ptr 0
		.amdhsa_user_sgpr_queue_ptr 0
		.amdhsa_user_sgpr_kernarg_segment_ptr 1
		.amdhsa_user_sgpr_dispatch_id 0
		.amdhsa_user_sgpr_kernarg_preload_length 0
		.amdhsa_user_sgpr_kernarg_preload_offset 0
		.amdhsa_user_sgpr_private_segment_size 0
		.amdhsa_uses_dynamic_stack 0
		.amdhsa_enable_private_segment 0
		.amdhsa_system_sgpr_workgroup_id_x 1
		.amdhsa_system_sgpr_workgroup_id_y 1
		.amdhsa_system_sgpr_workgroup_id_z 0
		.amdhsa_system_sgpr_workgroup_info 0
		.amdhsa_system_vgpr_workitem_id 0
		.amdhsa_next_free_vgpr 9
		.amdhsa_next_free_sgpr 29
		.amdhsa_accum_offset 12
		.amdhsa_reserve_vcc 1
		.amdhsa_float_round_mode_32 0
		.amdhsa_float_round_mode_16_64 0
		.amdhsa_float_denorm_mode_32 3
		.amdhsa_float_denorm_mode_16_64 3
		.amdhsa_dx10_clamp 1
		.amdhsa_ieee_mode 1
		.amdhsa_fp16_overflow 0
		.amdhsa_tg_split 0
		.amdhsa_exception_fp_ieee_invalid_op 0
		.amdhsa_exception_fp_denorm_src 0
		.amdhsa_exception_fp_ieee_div_zero 0
		.amdhsa_exception_fp_ieee_overflow 0
		.amdhsa_exception_fp_ieee_underflow 0
		.amdhsa_exception_fp_ieee_inexact 0
		.amdhsa_exception_int_div_zero 0
	.end_amdhsa_kernel
	.section	.text._ZN2at6native28tensor_kernel_scan_outer_dimIsmSt10multipliesIsEEEvPT_PKS4_jjjS4_T1_,"axG",@progbits,_ZN2at6native28tensor_kernel_scan_outer_dimIsmSt10multipliesIsEEEvPT_PKS4_jjjS4_T1_,comdat
.Lfunc_end44:
	.size	_ZN2at6native28tensor_kernel_scan_outer_dimIsmSt10multipliesIsEEEvPT_PKS4_jjjS4_T1_, .Lfunc_end44-_ZN2at6native28tensor_kernel_scan_outer_dimIsmSt10multipliesIsEEEvPT_PKS4_jjjS4_T1_
                                        ; -- End function
	.section	.AMDGPU.csdata,"",@progbits
; Kernel info:
; codeLenInByte = 316
; NumSgprs: 35
; NumVgprs: 9
; NumAgprs: 0
; TotalNumVgprs: 9
; ScratchSize: 0
; MemoryBound: 0
; FloatMode: 240
; IeeeMode: 1
; LDSByteSize: 0 bytes/workgroup (compile time only)
; SGPRBlocks: 4
; VGPRBlocks: 1
; NumSGPRsForWavesPerEU: 35
; NumVGPRsForWavesPerEU: 9
; AccumOffset: 12
; Occupancy: 8
; WaveLimiterHint : 0
; COMPUTE_PGM_RSRC2:SCRATCH_EN: 0
; COMPUTE_PGM_RSRC2:USER_SGPR: 2
; COMPUTE_PGM_RSRC2:TRAP_HANDLER: 0
; COMPUTE_PGM_RSRC2:TGID_X_EN: 1
; COMPUTE_PGM_RSRC2:TGID_Y_EN: 1
; COMPUTE_PGM_RSRC2:TGID_Z_EN: 0
; COMPUTE_PGM_RSRC2:TIDIG_COMP_CNT: 0
; COMPUTE_PGM_RSRC3_GFX90A:ACCUM_OFFSET: 2
; COMPUTE_PGM_RSRC3_GFX90A:TG_SPLIT: 0
	.section	.text._ZN7rocprim17ROCPRIM_304000_NS6detail31init_lookback_scan_state_kernelINS1_19lookback_scan_stateIdLb1ELb1EEEEEvT_jjPNS5_10value_typeE,"axG",@progbits,_ZN7rocprim17ROCPRIM_304000_NS6detail31init_lookback_scan_state_kernelINS1_19lookback_scan_stateIdLb1ELb1EEEEEvT_jjPNS5_10value_typeE,comdat
	.protected	_ZN7rocprim17ROCPRIM_304000_NS6detail31init_lookback_scan_state_kernelINS1_19lookback_scan_stateIdLb1ELb1EEEEEvT_jjPNS5_10value_typeE ; -- Begin function _ZN7rocprim17ROCPRIM_304000_NS6detail31init_lookback_scan_state_kernelINS1_19lookback_scan_stateIdLb1ELb1EEEEEvT_jjPNS5_10value_typeE
	.globl	_ZN7rocprim17ROCPRIM_304000_NS6detail31init_lookback_scan_state_kernelINS1_19lookback_scan_stateIdLb1ELb1EEEEEvT_jjPNS5_10value_typeE
	.p2align	8
	.type	_ZN7rocprim17ROCPRIM_304000_NS6detail31init_lookback_scan_state_kernelINS1_19lookback_scan_stateIdLb1ELb1EEEEEvT_jjPNS5_10value_typeE,@function
_ZN7rocprim17ROCPRIM_304000_NS6detail31init_lookback_scan_state_kernelINS1_19lookback_scan_stateIdLb1ELb1EEEEEvT_jjPNS5_10value_typeE: ; @_ZN7rocprim17ROCPRIM_304000_NS6detail31init_lookback_scan_state_kernelINS1_19lookback_scan_stateIdLb1ELb1EEEEEvT_jjPNS5_10value_typeE
; %bb.0:
	s_load_dword s3, s[0:1], 0x24
	s_load_dwordx2 s[8:9], s[0:1], 0x10
	s_load_dwordx4 s[4:7], s[0:1], 0x0
	s_waitcnt lgkmcnt(0)
	s_and_b32 s0, s3, 0xffff
	s_mul_i32 s2, s2, s0
	s_cmp_eq_u64 s[8:9], 0
	v_add_u32_e32 v0, s2, v0
	s_cbranch_scc1 .LBB45_10
; %bb.1:
	s_cmp_lt_u32 s7, s6
	s_cselect_b32 s0, s7, 0
	s_mov_b32 s3, 0
	v_cmp_eq_u32_e32 vcc, s0, v0
	s_and_saveexec_b64 s[0:1], vcc
	s_cbranch_execz .LBB45_9
; %bb.2:
	s_add_i32 s2, s7, 64
	s_lshl_b64 s[2:3], s[2:3], 4
	s_add_u32 s12, s4, s2
	s_addc_u32 s13, s5, s3
	v_mov_b64_e32 v[2:3], s[12:13]
	;;#ASMSTART
	global_load_dwordx4 v[2:5], v[2:3] off sc1	
s_waitcnt vmcnt(0)
	;;#ASMEND
	v_mov_b32_e32 v7, 0
	v_and_b32_e32 v6, 0xff, v4
	s_mov_b64 s[10:11], 0
	v_cmp_eq_u64_e32 vcc, 0, v[6:7]
	s_and_saveexec_b64 s[2:3], vcc
	s_cbranch_execz .LBB45_8
; %bb.3:
	s_mov_b32 s7, 1
	v_mov_b64_e32 v[8:9], s[12:13]
.LBB45_4:                               ; =>This Loop Header: Depth=1
                                        ;     Child Loop BB45_5 Depth 2
	s_max_u32 s12, s7, 1
.LBB45_5:                               ;   Parent Loop BB45_4 Depth=1
                                        ; =>  This Inner Loop Header: Depth=2
	s_add_i32 s12, s12, -1
	s_cmp_eq_u32 s12, 0
	s_sleep 1
	s_cbranch_scc0 .LBB45_5
; %bb.6:                                ;   in Loop: Header=BB45_4 Depth=1
	s_cmp_lt_u32 s7, 32
	s_cselect_b64 s[12:13], -1, 0
	s_cmp_lg_u64 s[12:13], 0
	;;#ASMSTART
	global_load_dwordx4 v[2:5], v[8:9] off sc1	
s_waitcnt vmcnt(0)
	;;#ASMEND
	s_addc_u32 s7, s7, 0
	v_and_b32_e32 v6, 0xff, v4
	v_cmp_ne_u64_e32 vcc, 0, v[6:7]
	s_or_b64 s[10:11], vcc, s[10:11]
	s_andn2_b64 exec, exec, s[10:11]
	s_cbranch_execnz .LBB45_4
; %bb.7:
	s_or_b64 exec, exec, s[10:11]
.LBB45_8:
	s_or_b64 exec, exec, s[2:3]
	v_mov_b32_e32 v1, 0
	global_store_dwordx2 v1, v[2:3], s[8:9]
.LBB45_9:
	s_or_b64 exec, exec, s[0:1]
.LBB45_10:
	v_cmp_gt_u32_e32 vcc, s6, v0
	s_and_saveexec_b64 s[0:1], vcc
	s_cbranch_execnz .LBB45_13
; %bb.11:
	s_or_b64 exec, exec, s[0:1]
	v_cmp_gt_u32_e32 vcc, 64, v0
	s_and_saveexec_b64 s[0:1], vcc
	s_cbranch_execnz .LBB45_14
.LBB45_12:
	s_endpgm
.LBB45_13:
	v_add_u32_e32 v2, 64, v0
	v_mov_b32_e32 v3, 0
	v_lshl_add_u64 v[6:7], v[2:3], 4, s[4:5]
	v_mov_b32_e32 v2, v3
	v_mov_b32_e32 v4, v3
	;; [unrolled: 1-line block ×3, first 2 shown]
	global_store_dwordx4 v[6:7], v[2:5], off
	s_or_b64 exec, exec, s[0:1]
	v_cmp_gt_u32_e32 vcc, 64, v0
	s_and_saveexec_b64 s[0:1], vcc
	s_cbranch_execz .LBB45_12
.LBB45_14:
	v_mov_b32_e32 v1, 0
	v_lshl_add_u64 v[4:5], v[0:1], 4, s[4:5]
	v_mov_b32_e32 v2, 0xff
	v_mov_b32_e32 v0, v1
	;; [unrolled: 1-line block ×3, first 2 shown]
	global_store_dwordx4 v[4:5], v[0:3], off
	s_endpgm
	.section	.rodata,"a",@progbits
	.p2align	6, 0x0
	.amdhsa_kernel _ZN7rocprim17ROCPRIM_304000_NS6detail31init_lookback_scan_state_kernelINS1_19lookback_scan_stateIdLb1ELb1EEEEEvT_jjPNS5_10value_typeE
		.amdhsa_group_segment_fixed_size 0
		.amdhsa_private_segment_fixed_size 0
		.amdhsa_kernarg_size 280
		.amdhsa_user_sgpr_count 2
		.amdhsa_user_sgpr_dispatch_ptr 0
		.amdhsa_user_sgpr_queue_ptr 0
		.amdhsa_user_sgpr_kernarg_segment_ptr 1
		.amdhsa_user_sgpr_dispatch_id 0
		.amdhsa_user_sgpr_kernarg_preload_length 0
		.amdhsa_user_sgpr_kernarg_preload_offset 0
		.amdhsa_user_sgpr_private_segment_size 0
		.amdhsa_uses_dynamic_stack 0
		.amdhsa_enable_private_segment 0
		.amdhsa_system_sgpr_workgroup_id_x 1
		.amdhsa_system_sgpr_workgroup_id_y 0
		.amdhsa_system_sgpr_workgroup_id_z 0
		.amdhsa_system_sgpr_workgroup_info 0
		.amdhsa_system_vgpr_workitem_id 0
		.amdhsa_next_free_vgpr 10
		.amdhsa_next_free_sgpr 14
		.amdhsa_accum_offset 12
		.amdhsa_reserve_vcc 1
		.amdhsa_float_round_mode_32 0
		.amdhsa_float_round_mode_16_64 0
		.amdhsa_float_denorm_mode_32 3
		.amdhsa_float_denorm_mode_16_64 3
		.amdhsa_dx10_clamp 1
		.amdhsa_ieee_mode 1
		.amdhsa_fp16_overflow 0
		.amdhsa_tg_split 0
		.amdhsa_exception_fp_ieee_invalid_op 0
		.amdhsa_exception_fp_denorm_src 0
		.amdhsa_exception_fp_ieee_div_zero 0
		.amdhsa_exception_fp_ieee_overflow 0
		.amdhsa_exception_fp_ieee_underflow 0
		.amdhsa_exception_fp_ieee_inexact 0
		.amdhsa_exception_int_div_zero 0
	.end_amdhsa_kernel
	.section	.text._ZN7rocprim17ROCPRIM_304000_NS6detail31init_lookback_scan_state_kernelINS1_19lookback_scan_stateIdLb1ELb1EEEEEvT_jjPNS5_10value_typeE,"axG",@progbits,_ZN7rocprim17ROCPRIM_304000_NS6detail31init_lookback_scan_state_kernelINS1_19lookback_scan_stateIdLb1ELb1EEEEEvT_jjPNS5_10value_typeE,comdat
.Lfunc_end45:
	.size	_ZN7rocprim17ROCPRIM_304000_NS6detail31init_lookback_scan_state_kernelINS1_19lookback_scan_stateIdLb1ELb1EEEEEvT_jjPNS5_10value_typeE, .Lfunc_end45-_ZN7rocprim17ROCPRIM_304000_NS6detail31init_lookback_scan_state_kernelINS1_19lookback_scan_stateIdLb1ELb1EEEEEvT_jjPNS5_10value_typeE
                                        ; -- End function
	.section	.AMDGPU.csdata,"",@progbits
; Kernel info:
; codeLenInByte = 372
; NumSgprs: 20
; NumVgprs: 10
; NumAgprs: 0
; TotalNumVgprs: 10
; ScratchSize: 0
; MemoryBound: 0
; FloatMode: 240
; IeeeMode: 1
; LDSByteSize: 0 bytes/workgroup (compile time only)
; SGPRBlocks: 2
; VGPRBlocks: 1
; NumSGPRsForWavesPerEU: 20
; NumVGPRsForWavesPerEU: 10
; AccumOffset: 12
; Occupancy: 8
; WaveLimiterHint : 0
; COMPUTE_PGM_RSRC2:SCRATCH_EN: 0
; COMPUTE_PGM_RSRC2:USER_SGPR: 2
; COMPUTE_PGM_RSRC2:TRAP_HANDLER: 0
; COMPUTE_PGM_RSRC2:TGID_X_EN: 1
; COMPUTE_PGM_RSRC2:TGID_Y_EN: 0
; COMPUTE_PGM_RSRC2:TGID_Z_EN: 0
; COMPUTE_PGM_RSRC2:TIDIG_COMP_CNT: 0
; COMPUTE_PGM_RSRC3_GFX90A:ACCUM_OFFSET: 2
; COMPUTE_PGM_RSRC3_GFX90A:TG_SPLIT: 0
	.section	.text._ZN7rocprim17ROCPRIM_304000_NS6detail31init_lookback_scan_state_kernelINS1_19lookback_scan_stateIdLb0ELb1EEEEEvT_jjPNS5_10value_typeE,"axG",@progbits,_ZN7rocprim17ROCPRIM_304000_NS6detail31init_lookback_scan_state_kernelINS1_19lookback_scan_stateIdLb0ELb1EEEEEvT_jjPNS5_10value_typeE,comdat
	.protected	_ZN7rocprim17ROCPRIM_304000_NS6detail31init_lookback_scan_state_kernelINS1_19lookback_scan_stateIdLb0ELb1EEEEEvT_jjPNS5_10value_typeE ; -- Begin function _ZN7rocprim17ROCPRIM_304000_NS6detail31init_lookback_scan_state_kernelINS1_19lookback_scan_stateIdLb0ELb1EEEEEvT_jjPNS5_10value_typeE
	.globl	_ZN7rocprim17ROCPRIM_304000_NS6detail31init_lookback_scan_state_kernelINS1_19lookback_scan_stateIdLb0ELb1EEEEEvT_jjPNS5_10value_typeE
	.p2align	8
	.type	_ZN7rocprim17ROCPRIM_304000_NS6detail31init_lookback_scan_state_kernelINS1_19lookback_scan_stateIdLb0ELb1EEEEEvT_jjPNS5_10value_typeE,@function
_ZN7rocprim17ROCPRIM_304000_NS6detail31init_lookback_scan_state_kernelINS1_19lookback_scan_stateIdLb0ELb1EEEEEvT_jjPNS5_10value_typeE: ; @_ZN7rocprim17ROCPRIM_304000_NS6detail31init_lookback_scan_state_kernelINS1_19lookback_scan_stateIdLb0ELb1EEEEEvT_jjPNS5_10value_typeE
; %bb.0:
	s_load_dword s3, s[0:1], 0x24
	s_load_dwordx2 s[8:9], s[0:1], 0x10
	s_load_dwordx4 s[4:7], s[0:1], 0x0
	s_waitcnt lgkmcnt(0)
	s_and_b32 s0, s3, 0xffff
	s_mul_i32 s2, s2, s0
	s_cmp_eq_u64 s[8:9], 0
	v_add_u32_e32 v0, s2, v0
	s_cbranch_scc1 .LBB46_8
; %bb.1:
	s_cmp_lt_u32 s7, s6
	s_cselect_b32 s0, s7, 0
	s_mov_b32 s3, 0
	v_cmp_eq_u32_e32 vcc, s0, v0
	s_and_saveexec_b64 s[0:1], vcc
	s_cbranch_execz .LBB46_7
; %bb.2:
	s_add_i32 s2, s7, 64
	s_lshl_b64 s[2:3], s[2:3], 4
	s_add_u32 s12, s4, s2
	s_addc_u32 s13, s5, s3
	v_mov_b64_e32 v[2:3], s[12:13]
	;;#ASMSTART
	global_load_dwordx4 v[2:5], v[2:3] off sc1	
s_waitcnt vmcnt(0)
	;;#ASMEND
	v_mov_b32_e32 v7, 0
	v_and_b32_e32 v6, 0xff, v4
	s_mov_b64 s[10:11], 0
	v_cmp_eq_u64_e32 vcc, 0, v[6:7]
	s_and_saveexec_b64 s[2:3], vcc
	s_cbranch_execz .LBB46_6
; %bb.3:
	v_mov_b64_e32 v[8:9], s[12:13]
.LBB46_4:                               ; =>This Inner Loop Header: Depth=1
	;;#ASMSTART
	global_load_dwordx4 v[2:5], v[8:9] off sc1	
s_waitcnt vmcnt(0)
	;;#ASMEND
	s_nop 0
	v_and_b32_e32 v6, 0xff, v4
	v_cmp_ne_u64_e32 vcc, 0, v[6:7]
	s_or_b64 s[10:11], vcc, s[10:11]
	s_andn2_b64 exec, exec, s[10:11]
	s_cbranch_execnz .LBB46_4
; %bb.5:
	s_or_b64 exec, exec, s[10:11]
.LBB46_6:
	s_or_b64 exec, exec, s[2:3]
	v_mov_b32_e32 v1, 0
	global_store_dwordx2 v1, v[2:3], s[8:9]
.LBB46_7:
	s_or_b64 exec, exec, s[0:1]
.LBB46_8:
	v_cmp_gt_u32_e32 vcc, s6, v0
	s_and_saveexec_b64 s[0:1], vcc
	s_cbranch_execnz .LBB46_11
; %bb.9:
	s_or_b64 exec, exec, s[0:1]
	v_cmp_gt_u32_e32 vcc, 64, v0
	s_and_saveexec_b64 s[0:1], vcc
	s_cbranch_execnz .LBB46_12
.LBB46_10:
	s_endpgm
.LBB46_11:
	v_add_u32_e32 v2, 64, v0
	v_mov_b32_e32 v3, 0
	v_lshl_add_u64 v[6:7], v[2:3], 4, s[4:5]
	v_mov_b32_e32 v2, v3
	v_mov_b32_e32 v4, v3
	;; [unrolled: 1-line block ×3, first 2 shown]
	global_store_dwordx4 v[6:7], v[2:5], off
	s_or_b64 exec, exec, s[0:1]
	v_cmp_gt_u32_e32 vcc, 64, v0
	s_and_saveexec_b64 s[0:1], vcc
	s_cbranch_execz .LBB46_10
.LBB46_12:
	v_mov_b32_e32 v1, 0
	v_lshl_add_u64 v[4:5], v[0:1], 4, s[4:5]
	v_mov_b32_e32 v2, 0xff
	v_mov_b32_e32 v0, v1
	;; [unrolled: 1-line block ×3, first 2 shown]
	global_store_dwordx4 v[4:5], v[0:3], off
	s_endpgm
	.section	.rodata,"a",@progbits
	.p2align	6, 0x0
	.amdhsa_kernel _ZN7rocprim17ROCPRIM_304000_NS6detail31init_lookback_scan_state_kernelINS1_19lookback_scan_stateIdLb0ELb1EEEEEvT_jjPNS5_10value_typeE
		.amdhsa_group_segment_fixed_size 0
		.amdhsa_private_segment_fixed_size 0
		.amdhsa_kernarg_size 280
		.amdhsa_user_sgpr_count 2
		.amdhsa_user_sgpr_dispatch_ptr 0
		.amdhsa_user_sgpr_queue_ptr 0
		.amdhsa_user_sgpr_kernarg_segment_ptr 1
		.amdhsa_user_sgpr_dispatch_id 0
		.amdhsa_user_sgpr_kernarg_preload_length 0
		.amdhsa_user_sgpr_kernarg_preload_offset 0
		.amdhsa_user_sgpr_private_segment_size 0
		.amdhsa_uses_dynamic_stack 0
		.amdhsa_enable_private_segment 0
		.amdhsa_system_sgpr_workgroup_id_x 1
		.amdhsa_system_sgpr_workgroup_id_y 0
		.amdhsa_system_sgpr_workgroup_id_z 0
		.amdhsa_system_sgpr_workgroup_info 0
		.amdhsa_system_vgpr_workitem_id 0
		.amdhsa_next_free_vgpr 10
		.amdhsa_next_free_sgpr 14
		.amdhsa_accum_offset 12
		.amdhsa_reserve_vcc 1
		.amdhsa_float_round_mode_32 0
		.amdhsa_float_round_mode_16_64 0
		.amdhsa_float_denorm_mode_32 3
		.amdhsa_float_denorm_mode_16_64 3
		.amdhsa_dx10_clamp 1
		.amdhsa_ieee_mode 1
		.amdhsa_fp16_overflow 0
		.amdhsa_tg_split 0
		.amdhsa_exception_fp_ieee_invalid_op 0
		.amdhsa_exception_fp_denorm_src 0
		.amdhsa_exception_fp_ieee_div_zero 0
		.amdhsa_exception_fp_ieee_overflow 0
		.amdhsa_exception_fp_ieee_underflow 0
		.amdhsa_exception_fp_ieee_inexact 0
		.amdhsa_exception_int_div_zero 0
	.end_amdhsa_kernel
	.section	.text._ZN7rocprim17ROCPRIM_304000_NS6detail31init_lookback_scan_state_kernelINS1_19lookback_scan_stateIdLb0ELb1EEEEEvT_jjPNS5_10value_typeE,"axG",@progbits,_ZN7rocprim17ROCPRIM_304000_NS6detail31init_lookback_scan_state_kernelINS1_19lookback_scan_stateIdLb0ELb1EEEEEvT_jjPNS5_10value_typeE,comdat
.Lfunc_end46:
	.size	_ZN7rocprim17ROCPRIM_304000_NS6detail31init_lookback_scan_state_kernelINS1_19lookback_scan_stateIdLb0ELb1EEEEEvT_jjPNS5_10value_typeE, .Lfunc_end46-_ZN7rocprim17ROCPRIM_304000_NS6detail31init_lookback_scan_state_kernelINS1_19lookback_scan_stateIdLb0ELb1EEEEEvT_jjPNS5_10value_typeE
                                        ; -- End function
	.section	.AMDGPU.csdata,"",@progbits
; Kernel info:
; codeLenInByte = 336
; NumSgprs: 20
; NumVgprs: 10
; NumAgprs: 0
; TotalNumVgprs: 10
; ScratchSize: 0
; MemoryBound: 0
; FloatMode: 240
; IeeeMode: 1
; LDSByteSize: 0 bytes/workgroup (compile time only)
; SGPRBlocks: 2
; VGPRBlocks: 1
; NumSGPRsForWavesPerEU: 20
; NumVGPRsForWavesPerEU: 10
; AccumOffset: 12
; Occupancy: 8
; WaveLimiterHint : 0
; COMPUTE_PGM_RSRC2:SCRATCH_EN: 0
; COMPUTE_PGM_RSRC2:USER_SGPR: 2
; COMPUTE_PGM_RSRC2:TRAP_HANDLER: 0
; COMPUTE_PGM_RSRC2:TGID_X_EN: 1
; COMPUTE_PGM_RSRC2:TGID_Y_EN: 0
; COMPUTE_PGM_RSRC2:TGID_Z_EN: 0
; COMPUTE_PGM_RSRC2:TIDIG_COMP_CNT: 0
; COMPUTE_PGM_RSRC3_GFX90A:ACCUM_OFFSET: 2
; COMPUTE_PGM_RSRC3_GFX90A:TG_SPLIT: 0
	.section	.text._ZN7rocprim17ROCPRIM_304000_NS6detail20lookback_scan_kernelILNS1_25lookback_scan_determinismE0ELb0ENS1_19wrapped_scan_configINS0_14default_configEdEEPKdPdSt10multipliesIdEddNS1_19lookback_scan_stateIdLb1ELb1EEEEEvT2_T3_mT5_T4_T7_jPT6_SK_bb,"axG",@progbits,_ZN7rocprim17ROCPRIM_304000_NS6detail20lookback_scan_kernelILNS1_25lookback_scan_determinismE0ELb0ENS1_19wrapped_scan_configINS0_14default_configEdEEPKdPdSt10multipliesIdEddNS1_19lookback_scan_stateIdLb1ELb1EEEEEvT2_T3_mT5_T4_T7_jPT6_SK_bb,comdat
	.protected	_ZN7rocprim17ROCPRIM_304000_NS6detail20lookback_scan_kernelILNS1_25lookback_scan_determinismE0ELb0ENS1_19wrapped_scan_configINS0_14default_configEdEEPKdPdSt10multipliesIdEddNS1_19lookback_scan_stateIdLb1ELb1EEEEEvT2_T3_mT5_T4_T7_jPT6_SK_bb ; -- Begin function _ZN7rocprim17ROCPRIM_304000_NS6detail20lookback_scan_kernelILNS1_25lookback_scan_determinismE0ELb0ENS1_19wrapped_scan_configINS0_14default_configEdEEPKdPdSt10multipliesIdEddNS1_19lookback_scan_stateIdLb1ELb1EEEEEvT2_T3_mT5_T4_T7_jPT6_SK_bb
	.globl	_ZN7rocprim17ROCPRIM_304000_NS6detail20lookback_scan_kernelILNS1_25lookback_scan_determinismE0ELb0ENS1_19wrapped_scan_configINS0_14default_configEdEEPKdPdSt10multipliesIdEddNS1_19lookback_scan_stateIdLb1ELb1EEEEEvT2_T3_mT5_T4_T7_jPT6_SK_bb
	.p2align	8
	.type	_ZN7rocprim17ROCPRIM_304000_NS6detail20lookback_scan_kernelILNS1_25lookback_scan_determinismE0ELb0ENS1_19wrapped_scan_configINS0_14default_configEdEEPKdPdSt10multipliesIdEddNS1_19lookback_scan_stateIdLb1ELb1EEEEEvT2_T3_mT5_T4_T7_jPT6_SK_bb,@function
_ZN7rocprim17ROCPRIM_304000_NS6detail20lookback_scan_kernelILNS1_25lookback_scan_determinismE0ELb0ENS1_19wrapped_scan_configINS0_14default_configEdEEPKdPdSt10multipliesIdEddNS1_19lookback_scan_stateIdLb1ELb1EEEEEvT2_T3_mT5_T4_T7_jPT6_SK_bb: ; @_ZN7rocprim17ROCPRIM_304000_NS6detail20lookback_scan_kernelILNS1_25lookback_scan_determinismE0ELb0ENS1_19wrapped_scan_configINS0_14default_configEdEEPKdPdSt10multipliesIdEddNS1_19lookback_scan_stateIdLb1ELb1EEEEEvT2_T3_mT5_T4_T7_jPT6_SK_bb
; %bb.0:
	s_endpgm
	.section	.rodata,"a",@progbits
	.p2align	6, 0x0
	.amdhsa_kernel _ZN7rocprim17ROCPRIM_304000_NS6detail20lookback_scan_kernelILNS1_25lookback_scan_determinismE0ELb0ENS1_19wrapped_scan_configINS0_14default_configEdEEPKdPdSt10multipliesIdEddNS1_19lookback_scan_stateIdLb1ELb1EEEEEvT2_T3_mT5_T4_T7_jPT6_SK_bb
		.amdhsa_group_segment_fixed_size 0
		.amdhsa_private_segment_fixed_size 0
		.amdhsa_kernarg_size 76
		.amdhsa_user_sgpr_count 2
		.amdhsa_user_sgpr_dispatch_ptr 0
		.amdhsa_user_sgpr_queue_ptr 0
		.amdhsa_user_sgpr_kernarg_segment_ptr 1
		.amdhsa_user_sgpr_dispatch_id 0
		.amdhsa_user_sgpr_kernarg_preload_length 0
		.amdhsa_user_sgpr_kernarg_preload_offset 0
		.amdhsa_user_sgpr_private_segment_size 0
		.amdhsa_uses_dynamic_stack 0
		.amdhsa_enable_private_segment 0
		.amdhsa_system_sgpr_workgroup_id_x 1
		.amdhsa_system_sgpr_workgroup_id_y 0
		.amdhsa_system_sgpr_workgroup_id_z 0
		.amdhsa_system_sgpr_workgroup_info 0
		.amdhsa_system_vgpr_workitem_id 0
		.amdhsa_next_free_vgpr 1
		.amdhsa_next_free_sgpr 0
		.amdhsa_accum_offset 4
		.amdhsa_reserve_vcc 0
		.amdhsa_float_round_mode_32 0
		.amdhsa_float_round_mode_16_64 0
		.amdhsa_float_denorm_mode_32 3
		.amdhsa_float_denorm_mode_16_64 3
		.amdhsa_dx10_clamp 1
		.amdhsa_ieee_mode 1
		.amdhsa_fp16_overflow 0
		.amdhsa_tg_split 0
		.amdhsa_exception_fp_ieee_invalid_op 0
		.amdhsa_exception_fp_denorm_src 0
		.amdhsa_exception_fp_ieee_div_zero 0
		.amdhsa_exception_fp_ieee_overflow 0
		.amdhsa_exception_fp_ieee_underflow 0
		.amdhsa_exception_fp_ieee_inexact 0
		.amdhsa_exception_int_div_zero 0
	.end_amdhsa_kernel
	.section	.text._ZN7rocprim17ROCPRIM_304000_NS6detail20lookback_scan_kernelILNS1_25lookback_scan_determinismE0ELb0ENS1_19wrapped_scan_configINS0_14default_configEdEEPKdPdSt10multipliesIdEddNS1_19lookback_scan_stateIdLb1ELb1EEEEEvT2_T3_mT5_T4_T7_jPT6_SK_bb,"axG",@progbits,_ZN7rocprim17ROCPRIM_304000_NS6detail20lookback_scan_kernelILNS1_25lookback_scan_determinismE0ELb0ENS1_19wrapped_scan_configINS0_14default_configEdEEPKdPdSt10multipliesIdEddNS1_19lookback_scan_stateIdLb1ELb1EEEEEvT2_T3_mT5_T4_T7_jPT6_SK_bb,comdat
.Lfunc_end47:
	.size	_ZN7rocprim17ROCPRIM_304000_NS6detail20lookback_scan_kernelILNS1_25lookback_scan_determinismE0ELb0ENS1_19wrapped_scan_configINS0_14default_configEdEEPKdPdSt10multipliesIdEddNS1_19lookback_scan_stateIdLb1ELb1EEEEEvT2_T3_mT5_T4_T7_jPT6_SK_bb, .Lfunc_end47-_ZN7rocprim17ROCPRIM_304000_NS6detail20lookback_scan_kernelILNS1_25lookback_scan_determinismE0ELb0ENS1_19wrapped_scan_configINS0_14default_configEdEEPKdPdSt10multipliesIdEddNS1_19lookback_scan_stateIdLb1ELb1EEEEEvT2_T3_mT5_T4_T7_jPT6_SK_bb
                                        ; -- End function
	.section	.AMDGPU.csdata,"",@progbits
; Kernel info:
; codeLenInByte = 4
; NumSgprs: 6
; NumVgprs: 0
; NumAgprs: 0
; TotalNumVgprs: 0
; ScratchSize: 0
; MemoryBound: 0
; FloatMode: 240
; IeeeMode: 1
; LDSByteSize: 0 bytes/workgroup (compile time only)
; SGPRBlocks: 0
; VGPRBlocks: 0
; NumSGPRsForWavesPerEU: 6
; NumVGPRsForWavesPerEU: 1
; AccumOffset: 4
; Occupancy: 8
; WaveLimiterHint : 0
; COMPUTE_PGM_RSRC2:SCRATCH_EN: 0
; COMPUTE_PGM_RSRC2:USER_SGPR: 2
; COMPUTE_PGM_RSRC2:TRAP_HANDLER: 0
; COMPUTE_PGM_RSRC2:TGID_X_EN: 1
; COMPUTE_PGM_RSRC2:TGID_Y_EN: 0
; COMPUTE_PGM_RSRC2:TGID_Z_EN: 0
; COMPUTE_PGM_RSRC2:TIDIG_COMP_CNT: 0
; COMPUTE_PGM_RSRC3_GFX90A:ACCUM_OFFSET: 0
; COMPUTE_PGM_RSRC3_GFX90A:TG_SPLIT: 0
	.section	.text._ZN7rocprim17ROCPRIM_304000_NS6detail20lookback_scan_kernelILNS1_25lookback_scan_determinismE0ELb0ENS1_19wrapped_scan_configINS0_14default_configEdEEPKdPdSt10multipliesIdEddNS1_19lookback_scan_stateIdLb0ELb1EEEEEvT2_T3_mT5_T4_T7_jPT6_SK_bb,"axG",@progbits,_ZN7rocprim17ROCPRIM_304000_NS6detail20lookback_scan_kernelILNS1_25lookback_scan_determinismE0ELb0ENS1_19wrapped_scan_configINS0_14default_configEdEEPKdPdSt10multipliesIdEddNS1_19lookback_scan_stateIdLb0ELb1EEEEEvT2_T3_mT5_T4_T7_jPT6_SK_bb,comdat
	.protected	_ZN7rocprim17ROCPRIM_304000_NS6detail20lookback_scan_kernelILNS1_25lookback_scan_determinismE0ELb0ENS1_19wrapped_scan_configINS0_14default_configEdEEPKdPdSt10multipliesIdEddNS1_19lookback_scan_stateIdLb0ELb1EEEEEvT2_T3_mT5_T4_T7_jPT6_SK_bb ; -- Begin function _ZN7rocprim17ROCPRIM_304000_NS6detail20lookback_scan_kernelILNS1_25lookback_scan_determinismE0ELb0ENS1_19wrapped_scan_configINS0_14default_configEdEEPKdPdSt10multipliesIdEddNS1_19lookback_scan_stateIdLb0ELb1EEEEEvT2_T3_mT5_T4_T7_jPT6_SK_bb
	.globl	_ZN7rocprim17ROCPRIM_304000_NS6detail20lookback_scan_kernelILNS1_25lookback_scan_determinismE0ELb0ENS1_19wrapped_scan_configINS0_14default_configEdEEPKdPdSt10multipliesIdEddNS1_19lookback_scan_stateIdLb0ELb1EEEEEvT2_T3_mT5_T4_T7_jPT6_SK_bb
	.p2align	8
	.type	_ZN7rocprim17ROCPRIM_304000_NS6detail20lookback_scan_kernelILNS1_25lookback_scan_determinismE0ELb0ENS1_19wrapped_scan_configINS0_14default_configEdEEPKdPdSt10multipliesIdEddNS1_19lookback_scan_stateIdLb0ELb1EEEEEvT2_T3_mT5_T4_T7_jPT6_SK_bb,@function
_ZN7rocprim17ROCPRIM_304000_NS6detail20lookback_scan_kernelILNS1_25lookback_scan_determinismE0ELb0ENS1_19wrapped_scan_configINS0_14default_configEdEEPKdPdSt10multipliesIdEddNS1_19lookback_scan_stateIdLb0ELb1EEEEEvT2_T3_mT5_T4_T7_jPT6_SK_bb: ; @_ZN7rocprim17ROCPRIM_304000_NS6detail20lookback_scan_kernelILNS1_25lookback_scan_determinismE0ELb0ENS1_19wrapped_scan_configINS0_14default_configEdEEPKdPdSt10multipliesIdEddNS1_19lookback_scan_stateIdLb0ELb1EEEEEvT2_T3_mT5_T4_T7_jPT6_SK_bb
; %bb.0:
	s_load_dword s3, s[0:1], 0x30
	s_load_dwordx4 s[8:11], s[0:1], 0x0
	s_load_dwordx2 s[4:5], s[0:1], 0x10
	s_mul_i32 s6, s2, 0xf00
	s_mov_b32 s7, 0
	s_waitcnt lgkmcnt(0)
	s_add_i32 s3, s3, -1
	s_mul_i32 s12, s3, 0xf00
	s_sub_u32 s22, s4, s12
	s_subb_u32 s23, s5, 0
	s_cmp_lg_u32 s2, s3
	s_cselect_b64 s[12:13], -1, 0
	s_lshl_b64 s[14:15], s[6:7], 3
	s_add_u32 s6, s8, s14
	s_addc_u32 s7, s9, s15
	s_mov_b64 s[4:5], -1
	s_and_b64 vcc, exec, s[12:13]
	v_lshlrev_b32_e32 v62, 3, v0
	s_cbranch_vccz .LBB48_2
; %bb.1:
	v_mov_b32_e32 v63, 0
	v_lshl_add_u64 v[2:3], s[6:7], 0, v[62:63]
	v_add_co_u32_e32 v8, vcc, 0x1000, v2
	global_load_dwordx2 v[4:5], v62, s[6:7]
	global_load_dwordx2 v[6:7], v62, s[6:7] offset:2048
	v_addc_co_u32_e32 v9, vcc, 0, v3, vcc
	v_add_co_u32_e32 v10, vcc, 0x2000, v2
	s_mov_b64 s[4:5], 0
	s_nop 0
	v_addc_co_u32_e32 v11, vcc, 0, v3, vcc
	global_load_dwordx2 v[12:13], v[8:9], off
	global_load_dwordx2 v[14:15], v[8:9], off offset:2048
	global_load_dwordx2 v[16:17], v[10:11], off
	global_load_dwordx2 v[18:19], v[10:11], off offset:2048
	v_add_co_u32_e32 v8, vcc, 0x3000, v2
	s_nop 1
	v_addc_co_u32_e32 v9, vcc, 0, v3, vcc
	v_add_co_u32_e32 v10, vcc, 0x4000, v2
	s_nop 1
	v_addc_co_u32_e32 v11, vcc, 0, v3, vcc
	global_load_dwordx2 v[20:21], v[8:9], off
	global_load_dwordx2 v[22:23], v[8:9], off offset:2048
	global_load_dwordx2 v[24:25], v[10:11], off
	global_load_dwordx2 v[26:27], v[10:11], off offset:2048
	v_add_co_u32_e32 v8, vcc, 0x5000, v2
	s_nop 1
	v_addc_co_u32_e32 v9, vcc, 0, v3, vcc
	v_add_co_u32_e32 v10, vcc, 0x6000, v2
	s_nop 1
	v_addc_co_u32_e32 v11, vcc, 0, v3, vcc
	global_load_dwordx2 v[28:29], v[8:9], off
	global_load_dwordx2 v[30:31], v[8:9], off offset:2048
	global_load_dwordx2 v[32:33], v[10:11], off
	global_load_dwordx2 v[34:35], v[10:11], off offset:2048
	v_add_co_u32_e32 v2, vcc, 0x7000, v2
	s_nop 1
	v_addc_co_u32_e32 v3, vcc, 0, v3, vcc
	global_load_dwordx2 v[2:3], v[2:3], off
	s_waitcnt vmcnt(13)
	ds_write2st64_b64 v62, v[4:5], v[6:7] offset1:4
	s_waitcnt vmcnt(11)
	ds_write2st64_b64 v62, v[12:13], v[14:15] offset0:8 offset1:12
	s_waitcnt vmcnt(9)
	ds_write2st64_b64 v62, v[16:17], v[18:19] offset0:16 offset1:20
	;; [unrolled: 2-line block ×6, first 2 shown]
	s_waitcnt vmcnt(0)
	ds_write_b64 v62, v[2:3] offset:28672
	s_waitcnt lgkmcnt(0)
	s_barrier
.LBB48_2:
	s_andn2_b64 vcc, exec, s[4:5]
	v_cmp_gt_u32_e64 s[4:5], s22, v0
	s_cbranch_vccnz .LBB48_34
; %bb.3:
	s_load_dwordx2 s[36:37], s[6:7], 0x0
	v_mov_b32_e32 v63, 0
	v_lshl_add_u64 v[34:35], s[6:7], 0, v[62:63]
	s_waitcnt lgkmcnt(0)
	s_mov_b32 s38, s36
	s_mov_b32 s39, s37
	;; [unrolled: 1-line block ×28, first 2 shown]
	v_mov_b64_e32 v[2:3], s[36:37]
	v_mov_b64_e32 v[4:5], s[38:39]
	;; [unrolled: 1-line block ×16, first 2 shown]
	s_and_saveexec_b64 s[6:7], s[4:5]
	s_cbranch_execz .LBB48_5
; %bb.4:
	global_load_dwordx2 v[2:3], v[34:35], off
	v_mov_b32_e32 v4, s36
	v_mov_b32_e32 v5, s37
	;; [unrolled: 1-line block ×28, first 2 shown]
.LBB48_5:
	s_or_b64 exec, exec, s[6:7]
	v_or_b32_e32 v1, 0x100, v0
	v_cmp_gt_u32_e32 vcc, s22, v1
	s_and_saveexec_b64 s[4:5], vcc
	s_cbranch_execz .LBB48_7
; %bb.6:
	global_load_dwordx2 v[4:5], v[34:35], off offset:2048
.LBB48_7:
	s_or_b64 exec, exec, s[4:5]
	v_or_b32_e32 v1, 0x200, v0
	v_cmp_gt_u32_e32 vcc, s22, v1
	s_and_saveexec_b64 s[4:5], vcc
	s_cbranch_execz .LBB48_9
; %bb.8:
	v_add_co_u32_e32 v6, vcc, 0x1000, v34
	s_nop 1
	v_addc_co_u32_e32 v7, vcc, 0, v35, vcc
	global_load_dwordx2 v[6:7], v[6:7], off
.LBB48_9:
	s_or_b64 exec, exec, s[4:5]
	v_or_b32_e32 v1, 0x300, v0
	v_cmp_gt_u32_e32 vcc, s22, v1
	s_and_saveexec_b64 s[4:5], vcc
	s_cbranch_execz .LBB48_11
; %bb.10:
	v_add_co_u32_e32 v8, vcc, 0x1000, v34
	s_nop 1
	v_addc_co_u32_e32 v9, vcc, 0, v35, vcc
	global_load_dwordx2 v[8:9], v[8:9], off offset:2048
.LBB48_11:
	s_or_b64 exec, exec, s[4:5]
	v_or_b32_e32 v1, 0x400, v0
	v_cmp_gt_u32_e32 vcc, s22, v1
	s_and_saveexec_b64 s[4:5], vcc
	s_cbranch_execz .LBB48_13
; %bb.12:
	v_add_co_u32_e32 v10, vcc, 0x2000, v34
	s_nop 1
	v_addc_co_u32_e32 v11, vcc, 0, v35, vcc
	global_load_dwordx2 v[10:11], v[10:11], off
.LBB48_13:
	s_or_b64 exec, exec, s[4:5]
	v_or_b32_e32 v1, 0x500, v0
	v_cmp_gt_u32_e32 vcc, s22, v1
	s_and_saveexec_b64 s[4:5], vcc
	s_cbranch_execz .LBB48_15
; %bb.14:
	v_add_co_u32_e32 v12, vcc, 0x2000, v34
	s_nop 1
	v_addc_co_u32_e32 v13, vcc, 0, v35, vcc
	global_load_dwordx2 v[12:13], v[12:13], off offset:2048
.LBB48_15:
	s_or_b64 exec, exec, s[4:5]
	v_or_b32_e32 v1, 0x600, v0
	v_cmp_gt_u32_e32 vcc, s22, v1
	s_and_saveexec_b64 s[4:5], vcc
	s_cbranch_execz .LBB48_17
; %bb.16:
	v_add_co_u32_e32 v14, vcc, 0x3000, v34
	s_nop 1
	v_addc_co_u32_e32 v15, vcc, 0, v35, vcc
	global_load_dwordx2 v[14:15], v[14:15], off
.LBB48_17:
	s_or_b64 exec, exec, s[4:5]
	v_or_b32_e32 v1, 0x700, v0
	v_cmp_gt_u32_e32 vcc, s22, v1
	s_and_saveexec_b64 s[4:5], vcc
	s_cbranch_execz .LBB48_19
; %bb.18:
	v_add_co_u32_e32 v16, vcc, 0x3000, v34
	s_nop 1
	v_addc_co_u32_e32 v17, vcc, 0, v35, vcc
	global_load_dwordx2 v[16:17], v[16:17], off offset:2048
.LBB48_19:
	s_or_b64 exec, exec, s[4:5]
	v_or_b32_e32 v1, 0x800, v0
	v_cmp_gt_u32_e32 vcc, s22, v1
	s_and_saveexec_b64 s[4:5], vcc
	s_cbranch_execz .LBB48_21
; %bb.20:
	v_add_co_u32_e32 v18, vcc, 0x4000, v34
	s_nop 1
	v_addc_co_u32_e32 v19, vcc, 0, v35, vcc
	global_load_dwordx2 v[18:19], v[18:19], off
.LBB48_21:
	s_or_b64 exec, exec, s[4:5]
	v_or_b32_e32 v1, 0x900, v0
	v_cmp_gt_u32_e32 vcc, s22, v1
	s_and_saveexec_b64 s[4:5], vcc
	s_cbranch_execz .LBB48_23
; %bb.22:
	v_add_co_u32_e32 v20, vcc, 0x4000, v34
	s_nop 1
	v_addc_co_u32_e32 v21, vcc, 0, v35, vcc
	global_load_dwordx2 v[20:21], v[20:21], off offset:2048
.LBB48_23:
	s_or_b64 exec, exec, s[4:5]
	v_or_b32_e32 v1, 0xa00, v0
	v_cmp_gt_u32_e32 vcc, s22, v1
	s_and_saveexec_b64 s[4:5], vcc
	s_cbranch_execz .LBB48_25
; %bb.24:
	v_add_co_u32_e32 v22, vcc, 0x5000, v34
	s_nop 1
	v_addc_co_u32_e32 v23, vcc, 0, v35, vcc
	global_load_dwordx2 v[22:23], v[22:23], off
.LBB48_25:
	s_or_b64 exec, exec, s[4:5]
	v_or_b32_e32 v1, 0xb00, v0
	v_cmp_gt_u32_e32 vcc, s22, v1
	s_and_saveexec_b64 s[4:5], vcc
	s_cbranch_execz .LBB48_27
; %bb.26:
	v_add_co_u32_e32 v24, vcc, 0x5000, v34
	s_nop 1
	v_addc_co_u32_e32 v25, vcc, 0, v35, vcc
	global_load_dwordx2 v[24:25], v[24:25], off offset:2048
.LBB48_27:
	s_or_b64 exec, exec, s[4:5]
	v_or_b32_e32 v1, 0xc00, v0
	v_cmp_gt_u32_e32 vcc, s22, v1
	s_and_saveexec_b64 s[4:5], vcc
	s_cbranch_execz .LBB48_29
; %bb.28:
	v_add_co_u32_e32 v26, vcc, 0x6000, v34
	s_nop 1
	v_addc_co_u32_e32 v27, vcc, 0, v35, vcc
	global_load_dwordx2 v[26:27], v[26:27], off
.LBB48_29:
	s_or_b64 exec, exec, s[4:5]
	v_or_b32_e32 v1, 0xd00, v0
	v_cmp_gt_u32_e32 vcc, s22, v1
	s_and_saveexec_b64 s[4:5], vcc
	s_cbranch_execz .LBB48_31
; %bb.30:
	v_add_co_u32_e32 v28, vcc, 0x6000, v34
	s_nop 1
	v_addc_co_u32_e32 v29, vcc, 0, v35, vcc
	global_load_dwordx2 v[28:29], v[28:29], off offset:2048
.LBB48_31:
	s_or_b64 exec, exec, s[4:5]
	v_or_b32_e32 v1, 0xe00, v0
	v_cmp_gt_u32_e32 vcc, s22, v1
	s_and_saveexec_b64 s[4:5], vcc
	s_cbranch_execz .LBB48_33
; %bb.32:
	v_add_co_u32_e32 v30, vcc, 0x7000, v34
	s_nop 1
	v_addc_co_u32_e32 v31, vcc, 0, v35, vcc
	global_load_dwordx2 v[30:31], v[30:31], off
.LBB48_33:
	s_or_b64 exec, exec, s[4:5]
	s_waitcnt vmcnt(0)
	ds_write2st64_b64 v62, v[2:3], v[4:5] offset1:4
	ds_write2st64_b64 v62, v[6:7], v[8:9] offset0:8 offset1:12
	ds_write2st64_b64 v62, v[10:11], v[12:13] offset0:16 offset1:20
	ds_write2st64_b64 v62, v[14:15], v[16:17] offset0:24 offset1:28
	ds_write2st64_b64 v62, v[18:19], v[20:21] offset0:32 offset1:36
	ds_write2st64_b64 v62, v[22:23], v[24:25] offset0:40 offset1:44
	ds_write2st64_b64 v62, v[26:27], v[28:29] offset0:48 offset1:52
	ds_write_b64 v62, v[30:31] offset:28672
	s_waitcnt lgkmcnt(0)
	s_barrier
.LBB48_34:
	v_mul_u32_u24_e32 v66, 15, v0
	v_lshlrev_b32_e32 v1, 3, v66
	ds_read2_b64 v[34:37], v1 offset1:1
	ds_read2_b64 v[38:41], v1 offset0:2 offset1:3
	ds_read2_b64 v[42:45], v1 offset0:4 offset1:5
	;; [unrolled: 1-line block ×6, first 2 shown]
	ds_read_b64 v[64:65], v1 offset:112
	s_load_dwordx2 s[16:17], s[0:1], 0x28
	s_cmp_lg_u32 s2, 0
	v_lshrrev_b32_e32 v63, 5, v0
	v_cmp_gt_u32_e32 vcc, 64, v0
	s_waitcnt lgkmcnt(0)
	s_barrier
	s_cbranch_scc0 .LBB48_59
; %bb.35:
	v_mul_f64 v[2:3], v[34:35], v[36:37]
	v_mul_f64 v[2:3], v[38:39], v[2:3]
	;; [unrolled: 1-line block ×14, first 2 shown]
	v_add_lshl_u32 v2, v63, v0, 3
	ds_write_b64 v2, v[10:11]
	s_waitcnt lgkmcnt(0)
	s_barrier
	s_and_saveexec_b64 s[6:7], vcc
	s_cbranch_execz .LBB48_37
; %bb.36:
	v_lshlrev_b32_e32 v2, 2, v0
	v_lshrrev_b32_e32 v3, 3, v0
	v_add_lshl_u32 v16, v3, v2, 3
	ds_read2_b64 v[2:5], v16 offset1:1
	ds_read2_b64 v[6:9], v16 offset0:2 offset1:3
	v_mbcnt_lo_u32_b32 v12, -1, 0
	v_mbcnt_hi_u32_b32 v17, -1, v12
	v_and_b32_e32 v18, 15, v17
	s_waitcnt lgkmcnt(1)
	v_mul_f64 v[12:13], v[2:3], v[4:5]
	s_waitcnt lgkmcnt(0)
	v_mul_f64 v[12:13], v[12:13], v[6:7]
	v_mul_f64 v[12:13], v[12:13], v[8:9]
	v_cmp_eq_u32_e64 s[4:5], 0, v18
	s_nop 0
	v_mov_b32_dpp v14, v12 row_shr:1 row_mask:0xf bank_mask:0xf
	v_mov_b32_dpp v15, v13 row_shr:1 row_mask:0xf bank_mask:0xf
	v_mul_f64 v[14:15], v[12:13], v[14:15]
	v_cndmask_b32_e64 v13, v15, v13, s[4:5]
	v_cndmask_b32_e64 v12, v14, v12, s[4:5]
	v_cmp_lt_u32_e64 s[4:5], 1, v18
	v_mov_b32_dpp v15, v13 row_shr:2 row_mask:0xf bank_mask:0xf
	v_mov_b32_dpp v14, v12 row_shr:2 row_mask:0xf bank_mask:0xf
	v_mul_f64 v[14:15], v[12:13], v[14:15]
	v_cndmask_b32_e64 v12, v12, v14, s[4:5]
	v_cndmask_b32_e64 v13, v13, v15, s[4:5]
	v_cmp_lt_u32_e64 s[4:5], 3, v18
	;; [unrolled: 6-line block ×3, first 2 shown]
	v_mov_b32_dpp v14, v12 row_shr:8 row_mask:0xf bank_mask:0xf
	v_mov_b32_dpp v15, v13 row_shr:8 row_mask:0xf bank_mask:0xf
	v_mul_f64 v[14:15], v[12:13], v[14:15]
	v_cndmask_b32_e64 v12, v12, v14, s[4:5]
	v_cndmask_b32_e64 v13, v13, v15, s[4:5]
	v_and_b32_e32 v18, 16, v17
	v_mov_b32_dpp v14, v12 row_bcast:15 row_mask:0xf bank_mask:0xf
	v_mov_b32_dpp v15, v13 row_bcast:15 row_mask:0xf bank_mask:0xf
	v_mul_f64 v[14:15], v[12:13], v[14:15]
	v_cmp_eq_u32_e64 s[4:5], 0, v18
	s_nop 1
	v_cndmask_b32_e64 v13, v15, v13, s[4:5]
	v_cndmask_b32_e64 v12, v14, v12, s[4:5]
	v_cmp_lt_u32_e64 s[4:5], 31, v17
	v_mov_b32_dpp v15, v13 row_bcast:31 row_mask:0xf bank_mask:0xf
	v_mov_b32_dpp v14, v12 row_bcast:31 row_mask:0xf bank_mask:0xf
	v_mul_f64 v[14:15], v[12:13], v[14:15]
	v_cndmask_b32_e64 v13, v13, v15, s[4:5]
	v_cndmask_b32_e64 v12, v12, v14, s[4:5]
	v_add_u32_e32 v14, -1, v17
	v_and_b32_e32 v15, 64, v17
	v_cmp_lt_i32_e64 s[4:5], v14, v15
	s_nop 1
	v_cndmask_b32_e64 v14, v14, v17, s[4:5]
	v_lshlrev_b32_e32 v14, 2, v14
	ds_bpermute_b32 v12, v14, v12
	ds_bpermute_b32 v13, v14, v13
	v_cmp_eq_u32_e64 s[4:5], 0, v0
	s_waitcnt lgkmcnt(0)
	v_mul_f64 v[2:3], v[2:3], v[12:13]
	v_cndmask_b32_e64 v3, v3, v11, s[4:5]
	v_cndmask_b32_e64 v2, v2, v10, s[4:5]
	v_mul_f64 v[4:5], v[4:5], v[2:3]
	ds_write2_b64 v16, v[2:3], v[4:5] offset1:1
	v_mul_f64 v[2:3], v[6:7], v[4:5]
	v_mul_f64 v[4:5], v[8:9], v[2:3]
	ds_write2_b64 v16, v[2:3], v[4:5] offset0:2 offset1:3
.LBB48_37:
	s_or_b64 exec, exec, s[6:7]
	v_cmp_eq_u32_e64 s[6:7], 0, v0
	v_cmp_ne_u32_e64 s[4:5], 0, v0
	s_waitcnt lgkmcnt(0)
	s_barrier
	s_and_saveexec_b64 s[8:9], s[4:5]
	s_cbranch_execz .LBB48_39
; %bb.38:
	v_add_u32_e32 v2, -1, v0
	v_lshrrev_b32_e32 v3, 5, v2
	v_add_lshl_u32 v2, v3, v2, 3
	ds_read_b64 v[10:11], v2
.LBB48_39:
	s_or_b64 exec, exec, s[8:9]
	s_and_saveexec_b64 s[18:19], vcc
	s_cbranch_execz .LBB48_58
; %bb.40:
	v_mov_b32_e32 v5, 0
	ds_read_b64 v[2:3], v5 offset:2096
	v_mbcnt_lo_u32_b32 v4, -1, 0
	v_mbcnt_hi_u32_b32 v13, -1, v4
	s_mov_b32 s21, 0
	v_cmp_eq_u32_e64 s[4:5], 0, v13
	s_and_saveexec_b64 s[8:9], s[4:5]
	s_cbranch_execz .LBB48_42
; %bb.41:
	s_add_i32 s20, s2, 64
	s_lshl_b64 s[20:21], s[20:21], 4
	s_add_u32 s20, s16, s20
	s_addc_u32 s21, s17, s21
	v_mov_b32_e32 v4, 1
	v_mov_b64_e32 v[6:7], s[20:21]
	s_waitcnt lgkmcnt(0)
	;;#ASMSTART
	global_store_dwordx4 v[6:7], v[2:5] off sc1	
s_waitcnt vmcnt(0)
	;;#ASMEND
.LBB48_42:
	s_or_b64 exec, exec, s[8:9]
	v_xad_u32 v12, v13, -1, s2
	v_add_u32_e32 v4, 64, v12
	v_lshl_add_u64 v[14:15], v[4:5], 4, s[16:17]
	;;#ASMSTART
	global_load_dwordx4 v[6:9], v[14:15] off sc1	
s_waitcnt vmcnt(0)
	;;#ASMEND
	s_nop 0
	v_cmp_eq_u16_sdwa s[20:21], v8, v5 src0_sel:BYTE_0 src1_sel:DWORD
	s_and_saveexec_b64 s[8:9], s[20:21]
	s_cbranch_execz .LBB48_46
; %bb.43:
	s_mov_b64 s[20:21], 0
	v_mov_b32_e32 v4, 0
.LBB48_44:                              ; =>This Inner Loop Header: Depth=1
	;;#ASMSTART
	global_load_dwordx4 v[6:9], v[14:15] off sc1	
s_waitcnt vmcnt(0)
	;;#ASMEND
	s_nop 0
	v_cmp_ne_u16_sdwa s[24:25], v8, v4 src0_sel:BYTE_0 src1_sel:DWORD
	s_or_b64 s[20:21], s[24:25], s[20:21]
	s_andn2_b64 exec, exec, s[20:21]
	s_cbranch_execnz .LBB48_44
; %bb.45:
	s_or_b64 exec, exec, s[20:21]
.LBB48_46:
	s_or_b64 exec, exec, s[8:9]
	v_and_b32_e32 v17, 63, v13
	v_cmp_ne_u32_e32 vcc, 63, v17
	v_mov_b32_e32 v18, 2
	v_cmp_eq_u16_sdwa s[8:9], v8, v18 src0_sel:BYTE_0 src1_sel:DWORD
	v_addc_co_u32_e32 v14, vcc, 0, v13, vcc
	v_lshlrev_b64 v[4:5], v13, -1
	v_lshlrev_b32_e32 v19, 2, v14
	v_and_b32_e32 v9, s9, v5
	ds_bpermute_b32 v14, v19, v6
	ds_bpermute_b32 v15, v19, v7
	v_or_b32_e32 v9, 0x80000000, v9
	v_and_b32_e32 v16, s8, v4
	v_ffbl_b32_e32 v9, v9
	v_add_u32_e32 v9, 32, v9
	v_ffbl_b32_e32 v16, v16
	v_min_u32_e32 v9, v16, v9
	v_add_u32_e32 v20, 1, v13
	s_waitcnt lgkmcnt(0)
	v_mul_f64 v[14:15], v[6:7], v[14:15]
	v_cmp_gt_u32_e32 vcc, v20, v9
	v_add_u32_e32 v22, 2, v13
	v_add_u32_e32 v24, 4, v13
	v_cndmask_b32_e32 v6, v14, v6, vcc
	v_cndmask_b32_e32 v7, v15, v7, vcc
	v_cmp_gt_u32_e32 vcc, 62, v17
	v_add_u32_e32 v26, 8, v13
	v_add_u32_e32 v28, 16, v13
	v_cndmask_b32_e64 v14, 0, 1, vcc
	v_lshlrev_b32_e32 v14, 1, v14
	v_add_lshl_u32 v21, v14, v13, 2
	ds_bpermute_b32 v14, v21, v6
	ds_bpermute_b32 v15, v21, v7
	v_cmp_gt_u32_e32 vcc, v22, v9
	v_cmp_gt_u32_e64 s[8:9], 32, v17
	v_add_u32_e32 v30, 32, v13
	s_waitcnt lgkmcnt(0)
	v_mul_f64 v[14:15], v[6:7], v[14:15]
	v_cndmask_b32_e32 v6, v14, v6, vcc
	v_cndmask_b32_e32 v7, v15, v7, vcc
	v_cmp_gt_u32_e32 vcc, 60, v17
	s_nop 1
	v_cndmask_b32_e64 v14, 0, 1, vcc
	v_lshlrev_b32_e32 v14, 2, v14
	v_add_lshl_u32 v23, v14, v13, 2
	ds_bpermute_b32 v14, v23, v6
	ds_bpermute_b32 v15, v23, v7
	v_cmp_gt_u32_e32 vcc, v24, v9
	s_waitcnt lgkmcnt(0)
	v_mul_f64 v[14:15], v[6:7], v[14:15]
	v_cndmask_b32_e32 v6, v14, v6, vcc
	v_cndmask_b32_e32 v7, v15, v7, vcc
	v_cmp_gt_u32_e32 vcc, 56, v17
	s_nop 1
	v_cndmask_b32_e64 v14, 0, 1, vcc
	v_lshlrev_b32_e32 v14, 3, v14
	v_add_lshl_u32 v25, v14, v13, 2
	ds_bpermute_b32 v14, v25, v6
	ds_bpermute_b32 v15, v25, v7
	v_cmp_gt_u32_e32 vcc, v26, v9
	;; [unrolled: 12-line block ×3, first 2 shown]
	s_waitcnt lgkmcnt(0)
	v_mul_f64 v[14:15], v[6:7], v[14:15]
	v_cndmask_b32_e32 v6, v14, v6, vcc
	v_cndmask_b32_e64 v14, 0, 1, s[8:9]
	v_lshlrev_b32_e32 v14, 5, v14
	v_add_lshl_u32 v29, v14, v13, 2
	v_cndmask_b32_e32 v7, v15, v7, vcc
	ds_bpermute_b32 v14, v29, v6
	ds_bpermute_b32 v15, v29, v7
	v_cmp_gt_u32_e32 vcc, v30, v9
	v_mov_b32_e32 v13, 0
	s_waitcnt lgkmcnt(0)
	v_mul_f64 v[14:15], v[6:7], v[14:15]
	v_cndmask_b32_e32 v7, v15, v7, vcc
	v_cndmask_b32_e32 v6, v14, v6, vcc
	s_branch .LBB48_48
.LBB48_47:                              ;   in Loop: Header=BB48_48 Depth=1
	s_or_b64 exec, exec, s[8:9]
	v_cmp_eq_u16_sdwa s[8:9], v8, v18 src0_sel:BYTE_0 src1_sel:DWORD
	ds_bpermute_b32 v16, v19, v6
	ds_bpermute_b32 v17, v19, v7
	v_and_b32_e32 v9, s9, v5
	v_or_b32_e32 v9, 0x80000000, v9
	v_and_b32_e32 v31, s8, v4
	v_ffbl_b32_e32 v9, v9
	v_add_u32_e32 v9, 32, v9
	v_ffbl_b32_e32 v31, v31
	v_min_u32_e32 v9, v31, v9
	s_waitcnt lgkmcnt(0)
	v_mul_f64 v[16:17], v[6:7], v[16:17]
	v_cmp_gt_u32_e32 vcc, v20, v9
	v_subrev_u32_e32 v12, 64, v12
	s_nop 0
	v_cndmask_b32_e32 v6, v16, v6, vcc
	v_cndmask_b32_e32 v7, v17, v7, vcc
	ds_bpermute_b32 v16, v21, v6
	ds_bpermute_b32 v17, v21, v7
	v_cmp_gt_u32_e32 vcc, v22, v9
	s_waitcnt lgkmcnt(0)
	v_mul_f64 v[16:17], v[6:7], v[16:17]
	v_cndmask_b32_e32 v6, v16, v6, vcc
	v_cndmask_b32_e32 v7, v17, v7, vcc
	ds_bpermute_b32 v16, v23, v6
	ds_bpermute_b32 v17, v23, v7
	v_cmp_gt_u32_e32 vcc, v24, v9
	s_waitcnt lgkmcnt(0)
	v_mul_f64 v[16:17], v[6:7], v[16:17]
	;; [unrolled: 7-line block ×5, first 2 shown]
	v_cndmask_b32_e32 v7, v17, v7, vcc
	v_cndmask_b32_e32 v6, v16, v6, vcc
	v_mul_f64 v[6:7], v[14:15], v[6:7]
.LBB48_48:                              ; =>This Loop Header: Depth=1
                                        ;     Child Loop BB48_51 Depth 2
	v_cmp_ne_u16_sdwa s[8:9], v8, v18 src0_sel:BYTE_0 src1_sel:DWORD
	v_mov_b64_e32 v[14:15], v[6:7]
	s_nop 0
	v_cndmask_b32_e64 v8, 0, 1, s[8:9]
	;;#ASMSTART
	;;#ASMEND
	s_nop 0
	v_cmp_ne_u32_e32 vcc, 0, v8
	s_cmp_lg_u64 vcc, exec
	s_cbranch_scc1 .LBB48_53
; %bb.49:                               ;   in Loop: Header=BB48_48 Depth=1
	v_lshl_add_u64 v[16:17], v[12:13], 4, s[16:17]
	;;#ASMSTART
	global_load_dwordx4 v[6:9], v[16:17] off sc1	
s_waitcnt vmcnt(0)
	;;#ASMEND
	s_nop 0
	v_cmp_eq_u16_sdwa s[20:21], v8, v13 src0_sel:BYTE_0 src1_sel:DWORD
	s_and_saveexec_b64 s[8:9], s[20:21]
	s_cbranch_execz .LBB48_47
; %bb.50:                               ;   in Loop: Header=BB48_48 Depth=1
	s_mov_b64 s[20:21], 0
.LBB48_51:                              ;   Parent Loop BB48_48 Depth=1
                                        ; =>  This Inner Loop Header: Depth=2
	;;#ASMSTART
	global_load_dwordx4 v[6:9], v[16:17] off sc1	
s_waitcnt vmcnt(0)
	;;#ASMEND
	s_nop 0
	v_cmp_ne_u16_sdwa s[24:25], v8, v13 src0_sel:BYTE_0 src1_sel:DWORD
	s_or_b64 s[20:21], s[24:25], s[20:21]
	s_andn2_b64 exec, exec, s[20:21]
	s_cbranch_execnz .LBB48_51
; %bb.52:                               ;   in Loop: Header=BB48_48 Depth=1
	s_or_b64 exec, exec, s[20:21]
	s_branch .LBB48_47
.LBB48_53:                              ;   in Loop: Header=BB48_48 Depth=1
                                        ; implicit-def: $vgpr6_vgpr7
                                        ; implicit-def: $vgpr8
	s_cbranch_execz .LBB48_48
; %bb.54:
	s_and_saveexec_b64 s[8:9], s[4:5]
	s_cbranch_execz .LBB48_56
; %bb.55:
	s_add_i32 s2, s2, 64
	s_mov_b32 s3, 0
	s_lshl_b64 s[2:3], s[2:3], 4
	s_add_u32 s2, s16, s2
	s_addc_u32 s3, s17, s3
	v_mul_f64 v[2:3], v[2:3], v[14:15]
	v_mov_b32_e32 v4, 2
	v_mov_b32_e32 v5, 0
	v_mov_b64_e32 v[6:7], s[2:3]
	;;#ASMSTART
	global_store_dwordx4 v[6:7], v[2:5] off sc1	
s_waitcnt vmcnt(0)
	;;#ASMEND
.LBB48_56:
	s_or_b64 exec, exec, s[8:9]
	s_and_b64 exec, exec, s[6:7]
	s_cbranch_execz .LBB48_58
; %bb.57:
	v_mov_b32_e32 v2, 0
	ds_write_b64 v2, v[14:15]
.LBB48_58:
	s_or_b64 exec, exec, s[18:19]
	v_mov_b32_e32 v2, 0
	s_waitcnt lgkmcnt(0)
	s_barrier
	ds_read_b64 v[2:3], v2
	v_mul_f64 v[4:5], v[34:35], v[10:11]
	v_cndmask_b32_e64 v5, v5, v35, s[6:7]
	v_cndmask_b32_e64 v4, v4, v34, s[6:7]
	s_waitcnt lgkmcnt(0)
	v_mul_f64 v[2:3], v[4:5], v[2:3]
	v_mul_f64 v[4:5], v[36:37], v[2:3]
	;; [unrolled: 1-line block ×15, first 2 shown]
	s_load_dwordx4 s[4:7], s[0:1], 0x38
	s_branch .LBB48_69
.LBB48_59:
                                        ; implicit-def: $vgpr2_vgpr3_vgpr4_vgpr5_vgpr6_vgpr7_vgpr8_vgpr9_vgpr10_vgpr11_vgpr12_vgpr13_vgpr14_vgpr15_vgpr16_vgpr17_vgpr18_vgpr19_vgpr20_vgpr21_vgpr22_vgpr23_vgpr24_vgpr25_vgpr26_vgpr27_vgpr28_vgpr29_vgpr30_vgpr31_vgpr32_vgpr33
	s_load_dwordx4 s[4:7], s[0:1], 0x38
	s_cbranch_execz .LBB48_69
; %bb.60:
	s_load_dword s8, s[0:1], 0x48
	v_cmp_eq_u32_e32 vcc, 0, v0
	v_cmp_ne_u32_e64 s[2:3], 0, v0
	s_waitcnt lgkmcnt(0)
	s_bitcmp1_b32 s8, 0
	s_cselect_b64 s[8:9], -1, 0
	s_and_b64 s[18:19], vcc, s[8:9]
	s_and_saveexec_b64 s[8:9], s[18:19]
	s_cbranch_execz .LBB48_62
; %bb.61:
	s_load_dwordx2 s[4:5], s[4:5], 0x0
	s_waitcnt lgkmcnt(0)
	v_mul_f64 v[34:35], v[34:35], s[4:5]
.LBB48_62:
	s_or_b64 exec, exec, s[8:9]
	v_mul_f64 v[2:3], v[34:35], v[36:37]
	v_mul_f64 v[2:3], v[38:39], v[2:3]
	;; [unrolled: 1-line block ×14, first 2 shown]
	v_add_lshl_u32 v4, v63, v0, 3
	v_cmp_gt_u32_e64 s[4:5], 64, v0
	ds_write_b64 v4, v[2:3]
	s_waitcnt lgkmcnt(0)
	s_barrier
	s_and_saveexec_b64 s[8:9], s[4:5]
	s_cbranch_execz .LBB48_64
; %bb.63:
	v_lshlrev_b32_e32 v4, 2, v0
	v_lshrrev_b32_e32 v5, 3, v0
	v_add_lshl_u32 v16, v5, v4, 3
	ds_read2_b64 v[4:7], v16 offset1:1
	ds_read2_b64 v[8:11], v16 offset0:2 offset1:3
	v_mbcnt_lo_u32_b32 v12, -1, 0
	v_mbcnt_hi_u32_b32 v17, -1, v12
	v_and_b32_e32 v18, 15, v17
	s_waitcnt lgkmcnt(1)
	v_mul_f64 v[12:13], v[4:5], v[6:7]
	s_waitcnt lgkmcnt(0)
	v_mul_f64 v[12:13], v[12:13], v[8:9]
	v_mul_f64 v[12:13], v[12:13], v[10:11]
	v_cmp_eq_u32_e64 s[4:5], 0, v18
	s_nop 0
	v_mov_b32_dpp v14, v12 row_shr:1 row_mask:0xf bank_mask:0xf
	v_mov_b32_dpp v15, v13 row_shr:1 row_mask:0xf bank_mask:0xf
	v_mul_f64 v[14:15], v[12:13], v[14:15]
	v_cndmask_b32_e64 v13, v15, v13, s[4:5]
	v_cndmask_b32_e64 v12, v14, v12, s[4:5]
	v_cmp_lt_u32_e64 s[4:5], 1, v18
	v_mov_b32_dpp v15, v13 row_shr:2 row_mask:0xf bank_mask:0xf
	v_mov_b32_dpp v14, v12 row_shr:2 row_mask:0xf bank_mask:0xf
	v_mul_f64 v[14:15], v[12:13], v[14:15]
	v_cndmask_b32_e64 v12, v12, v14, s[4:5]
	v_cndmask_b32_e64 v13, v13, v15, s[4:5]
	v_cmp_lt_u32_e64 s[4:5], 3, v18
	;; [unrolled: 6-line block ×3, first 2 shown]
	v_mov_b32_dpp v14, v12 row_shr:8 row_mask:0xf bank_mask:0xf
	v_mov_b32_dpp v15, v13 row_shr:8 row_mask:0xf bank_mask:0xf
	v_mul_f64 v[14:15], v[12:13], v[14:15]
	v_cndmask_b32_e64 v12, v12, v14, s[4:5]
	v_cndmask_b32_e64 v13, v13, v15, s[4:5]
	v_and_b32_e32 v18, 16, v17
	v_mov_b32_dpp v14, v12 row_bcast:15 row_mask:0xf bank_mask:0xf
	v_mov_b32_dpp v15, v13 row_bcast:15 row_mask:0xf bank_mask:0xf
	v_mul_f64 v[14:15], v[12:13], v[14:15]
	v_cmp_eq_u32_e64 s[4:5], 0, v18
	s_nop 1
	v_cndmask_b32_e64 v13, v15, v13, s[4:5]
	v_cndmask_b32_e64 v12, v14, v12, s[4:5]
	v_cmp_lt_u32_e64 s[4:5], 31, v17
	v_mov_b32_dpp v15, v13 row_bcast:31 row_mask:0xf bank_mask:0xf
	v_mov_b32_dpp v14, v12 row_bcast:31 row_mask:0xf bank_mask:0xf
	v_mul_f64 v[14:15], v[12:13], v[14:15]
	v_cndmask_b32_e64 v13, v13, v15, s[4:5]
	v_cndmask_b32_e64 v12, v12, v14, s[4:5]
	v_add_u32_e32 v14, -1, v17
	v_and_b32_e32 v15, 64, v17
	v_cmp_lt_i32_e64 s[4:5], v14, v15
	s_nop 1
	v_cndmask_b32_e64 v14, v14, v17, s[4:5]
	v_lshlrev_b32_e32 v14, 2, v14
	ds_bpermute_b32 v12, v14, v12
	ds_bpermute_b32 v13, v14, v13
	s_waitcnt lgkmcnt(0)
	v_mul_f64 v[4:5], v[4:5], v[12:13]
	v_cndmask_b32_e32 v5, v5, v3, vcc
	v_cndmask_b32_e32 v4, v4, v2, vcc
	v_mul_f64 v[6:7], v[6:7], v[4:5]
	ds_write2_b64 v16, v[4:5], v[6:7] offset1:1
	v_mul_f64 v[4:5], v[8:9], v[6:7]
	v_mul_f64 v[6:7], v[10:11], v[4:5]
	ds_write2_b64 v16, v[4:5], v[6:7] offset0:2 offset1:3
.LBB48_64:
	s_or_b64 exec, exec, s[8:9]
	s_waitcnt lgkmcnt(0)
	s_barrier
	s_and_saveexec_b64 s[4:5], s[2:3]
	s_cbranch_execz .LBB48_66
; %bb.65:
	v_add_u32_e32 v2, -1, v0
	v_lshrrev_b32_e32 v3, 5, v2
	v_add_lshl_u32 v2, v3, v2, 3
	ds_read_b64 v[2:3], v2
.LBB48_66:
	s_or_b64 exec, exec, s[4:5]
	s_waitcnt lgkmcnt(0)
	v_mul_f64 v[2:3], v[34:35], v[2:3]
	v_cndmask_b32_e32 v3, v3, v35, vcc
	v_cndmask_b32_e32 v2, v2, v34, vcc
	v_mul_f64 v[4:5], v[36:37], v[2:3]
	v_mul_f64 v[6:7], v[38:39], v[4:5]
	;; [unrolled: 1-line block ×14, first 2 shown]
	s_and_saveexec_b64 s[2:3], vcc
	s_cbranch_execz .LBB48_68
; %bb.67:
	s_add_u32 s4, s16, 0x400
	v_mov_b32_e32 v35, 0
	s_addc_u32 s5, s17, 0
	ds_read_b64 v[32:33], v35 offset:2096
	v_mov_b32_e32 v34, 2
	v_mov_b64_e32 v[36:37], s[4:5]
	s_waitcnt lgkmcnt(0)
	;;#ASMSTART
	global_store_dwordx4 v[36:37], v[32:35] off sc1	
s_waitcnt vmcnt(0)
	;;#ASMEND
.LBB48_68:
	s_or_b64 exec, exec, s[2:3]
.LBB48_69:
	s_add_u32 s2, s10, s14
	s_addc_u32 s3, s11, s15
	s_waitcnt lgkmcnt(0)
	s_mov_b64 s[4:5], -1
	s_and_b64 vcc, exec, s[12:13]
	s_barrier
	s_cbranch_vccz .LBB48_71
; %bb.70:
	v_mul_u32_u24_e32 v32, 0x78, v0
	s_movk_i32 s4, 0x78
	ds_write2_b64 v32, v[2:3], v[4:5] offset1:1
	ds_write2_b64 v32, v[6:7], v[8:9] offset0:2 offset1:3
	ds_write2_b64 v32, v[10:11], v[12:13] offset0:4 offset1:5
	;; [unrolled: 1-line block ×6, first 2 shown]
	ds_write_b64 v32, v[30:31] offset:112
	v_mul_i32_i24_e32 v32, 0xffffff90, v0
	v_mad_u32_u24 v60, v0, s4, v32
	v_mov_b32_e32 v63, 0
	s_waitcnt lgkmcnt(0)
	s_barrier
	ds_read2st64_b64 v[32:35], v60 offset1:4
	ds_read2st64_b64 v[36:39], v60 offset0:8 offset1:12
	ds_read2st64_b64 v[40:43], v60 offset0:16 offset1:20
	;; [unrolled: 1-line block ×6, first 2 shown]
	ds_read_b64 v[60:61], v60 offset:28672
	v_lshl_add_u64 v[64:65], s[2:3], 0, v[62:63]
	s_movk_i32 s4, 0x1000
	s_waitcnt lgkmcnt(7)
	global_store_dwordx2 v62, v[32:33], s[2:3]
	global_store_dwordx2 v62, v[34:35], s[2:3] offset:2048
	v_add_co_u32_e32 v32, vcc, s4, v64
	s_movk_i32 s4, 0x2000
	s_nop 0
	v_addc_co_u32_e32 v33, vcc, 0, v65, vcc
	v_add_co_u32_e32 v34, vcc, s4, v64
	s_movk_i32 s4, 0x3000
	s_nop 0
	v_addc_co_u32_e32 v35, vcc, 0, v65, vcc
	s_waitcnt lgkmcnt(6)
	global_store_dwordx2 v[34:35], v[36:37], off offset:-4096
	global_store_dwordx2 v[32:33], v[38:39], off offset:2048
	s_waitcnt lgkmcnt(5)
	global_store_dwordx2 v[34:35], v[40:41], off
	global_store_dwordx2 v[34:35], v[42:43], off offset:2048
	v_add_co_u32_e32 v32, vcc, s4, v64
	s_movk_i32 s4, 0x4000
	s_nop 0
	v_addc_co_u32_e32 v33, vcc, 0, v65, vcc
	v_add_co_u32_e32 v34, vcc, s4, v64
	s_movk_i32 s4, 0x5000
	s_nop 0
	v_addc_co_u32_e32 v35, vcc, 0, v65, vcc
	s_waitcnt lgkmcnt(4)
	global_store_dwordx2 v[34:35], v[44:45], off offset:-4096
	global_store_dwordx2 v[32:33], v[46:47], off offset:2048
	s_waitcnt lgkmcnt(3)
	global_store_dwordx2 v[34:35], v[48:49], off
	global_store_dwordx2 v[34:35], v[50:51], off offset:2048
	v_add_co_u32_e32 v32, vcc, s4, v64
	s_mov_b64 s[4:5], 0
	s_nop 0
	v_addc_co_u32_e32 v33, vcc, 0, v65, vcc
	s_waitcnt lgkmcnt(2)
	global_store_dwordx2 v[32:33], v[52:53], off
	global_store_dwordx2 v[32:33], v[54:55], off offset:2048
	v_add_co_u32_e32 v32, vcc, 0x6000, v64
	s_nop 1
	v_addc_co_u32_e32 v33, vcc, 0, v65, vcc
	s_waitcnt lgkmcnt(1)
	global_store_dwordx2 v[32:33], v[56:57], off
	global_store_dwordx2 v[32:33], v[58:59], off offset:2048
	v_add_co_u32_e32 v32, vcc, 0x7000, v64
	s_nop 1
	v_addc_co_u32_e32 v33, vcc, 0, v65, vcc
	s_waitcnt lgkmcnt(0)
	global_store_dwordx2 v[32:33], v[60:61], off
.LBB48_71:
	s_andn2_b64 vcc, exec, s[4:5]
	s_cbranch_vccnz .LBB48_157
; %bb.72:
	s_movk_i32 s4, 0xff90
	ds_write2_b64 v1, v[2:3], v[4:5] offset1:1
	ds_write2_b64 v1, v[6:7], v[8:9] offset0:2 offset1:3
	ds_write2_b64 v1, v[10:11], v[12:13] offset0:4 offset1:5
	ds_write2_b64 v1, v[14:15], v[16:17] offset0:6 offset1:7
	ds_write2_b64 v1, v[18:19], v[20:21] offset0:8 offset1:9
	ds_write2_b64 v1, v[22:23], v[24:25] offset0:10 offset1:11
	ds_write2_b64 v1, v[26:27], v[28:29] offset0:12 offset1:13
	ds_write_b64 v1, v[30:31] offset:112
	v_mad_i32_i24 v1, v0, s4, v1
	s_waitcnt lgkmcnt(0)
	s_barrier
	ds_read2st64_b64 v[6:9], v1 offset1:4
	ds_read2st64_b64 v[14:17], v1 offset0:8 offset1:12
	ds_read2st64_b64 v[10:13], v1 offset0:16 offset1:20
	;; [unrolled: 1-line block ×6, first 2 shown]
	ds_read_b64 v[30:31], v1 offset:28672
	v_mov_b32_e32 v63, 0
	v_lshl_add_u64 v[32:33], s[2:3], 0, v[62:63]
	v_cmp_gt_u32_e32 vcc, s22, v0
	s_and_saveexec_b64 s[2:3], vcc
	s_cbranch_execz .LBB48_74
; %bb.73:
	s_waitcnt lgkmcnt(7)
	global_store_dwordx2 v[32:33], v[6:7], off
.LBB48_74:
	s_or_b64 exec, exec, s[2:3]
	v_or_b32_e32 v1, 0x100, v0
	v_cmp_gt_u32_e32 vcc, s22, v1
	s_and_saveexec_b64 s[2:3], vcc
	s_cbranch_execz .LBB48_76
; %bb.75:
	s_waitcnt lgkmcnt(7)
	global_store_dwordx2 v[32:33], v[8:9], off offset:2048
.LBB48_76:
	s_or_b64 exec, exec, s[2:3]
	v_or_b32_e32 v1, 0x200, v0
	v_cmp_gt_u32_e32 vcc, s22, v1
	s_and_saveexec_b64 s[2:3], vcc
	s_cbranch_execz .LBB48_78
; %bb.77:
	v_add_co_u32_e32 v34, vcc, 0x1000, v32
	s_nop 1
	v_addc_co_u32_e32 v35, vcc, 0, v33, vcc
	s_waitcnt lgkmcnt(6)
	global_store_dwordx2 v[34:35], v[14:15], off
.LBB48_78:
	s_or_b64 exec, exec, s[2:3]
	v_or_b32_e32 v1, 0x300, v0
	v_cmp_gt_u32_e32 vcc, s22, v1
	s_and_saveexec_b64 s[2:3], vcc
	s_cbranch_execz .LBB48_80
; %bb.79:
	v_add_co_u32_e32 v34, vcc, 0x1000, v32
	s_nop 1
	v_addc_co_u32_e32 v35, vcc, 0, v33, vcc
	s_waitcnt lgkmcnt(6)
	global_store_dwordx2 v[34:35], v[16:17], off offset:2048
.LBB48_80:
	s_or_b64 exec, exec, s[2:3]
	v_or_b32_e32 v1, 0x400, v0
	v_cmp_gt_u32_e32 vcc, s22, v1
	s_and_saveexec_b64 s[2:3], vcc
	s_cbranch_execz .LBB48_82
; %bb.81:
	v_add_co_u32_e32 v34, vcc, 0x2000, v32
	s_nop 1
	v_addc_co_u32_e32 v35, vcc, 0, v33, vcc
	s_waitcnt lgkmcnt(5)
	global_store_dwordx2 v[34:35], v[10:11], off
.LBB48_82:
	s_or_b64 exec, exec, s[2:3]
	v_or_b32_e32 v1, 0x500, v0
	v_cmp_gt_u32_e32 vcc, s22, v1
	s_and_saveexec_b64 s[2:3], vcc
	s_cbranch_execz .LBB48_84
; %bb.83:
	v_add_co_u32_e32 v34, vcc, 0x2000, v32
	s_nop 1
	v_addc_co_u32_e32 v35, vcc, 0, v33, vcc
	s_waitcnt lgkmcnt(5)
	global_store_dwordx2 v[34:35], v[12:13], off offset:2048
.LBB48_84:
	;; [unrolled: 24-line block ×6, first 2 shown]
	s_or_b64 exec, exec, s[2:3]
	v_or_b32_e32 v1, 0xe00, v0
	v_cmp_gt_u32_e32 vcc, s22, v1
	s_and_saveexec_b64 s[2:3], vcc
	s_cbranch_execz .LBB48_102
; %bb.101:
	v_add_co_u32_e32 v32, vcc, 0x7000, v32
	s_nop 1
	v_addc_co_u32_e32 v33, vcc, 0, v33, vcc
	s_waitcnt lgkmcnt(0)
	global_store_dwordx2 v[32:33], v[30:31], off
.LBB48_102:
	s_or_b64 exec, exec, s[2:3]
	s_load_dword s0, s[0:1], 0x48
	s_waitcnt lgkmcnt(0)
	s_bfe_u32 s0, s0, 0x10008
	s_cmp_eq_u32 s0, 0
	s_cbranch_scc1 .LBB48_157
; %bb.103:
	s_add_u32 s0, s22, -1
	s_addc_u32 s1, s23, -1
	s_add_u32 s2, 0, 0x11108400
	s_addc_u32 s3, 0, 49
	s_add_i32 s3, s3, 0x111110e0
	s_mul_hi_u32 s9, s2, -15
	s_sub_i32 s9, s9, s2
	s_mul_i32 s10, s3, -15
	s_mul_i32 s4, s2, -15
	s_add_i32 s9, s9, s10
	s_mul_hi_u32 s5, s3, s4
	s_mul_i32 s8, s3, s4
	s_mul_i32 s11, s2, s9
	s_mul_hi_u32 s4, s2, s4
	s_mul_hi_u32 s10, s2, s9
	s_add_u32 s4, s4, s11
	s_addc_u32 s10, 0, s10
	s_add_u32 s4, s4, s8
	s_mul_hi_u32 s11, s3, s9
	s_addc_u32 s4, s10, s5
	s_addc_u32 s5, s11, 0
	s_mul_i32 s8, s3, s9
	s_add_u32 s4, s4, s8
	v_mov_b32_e32 v32, s4
	s_addc_u32 s5, 0, s5
	v_add_co_u32_e32 v32, vcc, s2, v32
	s_cmp_lg_u64 vcc, 0
	s_addc_u32 s2, s3, s5
	v_readfirstlane_b32 s5, v32
	s_mul_i32 s4, s0, s2
	s_mul_hi_u32 s8, s0, s5
	s_mul_hi_u32 s3, s0, s2
	s_add_u32 s4, s8, s4
	s_addc_u32 s3, 0, s3
	s_mul_hi_u32 s9, s1, s5
	s_mul_i32 s5, s1, s5
	s_add_u32 s4, s4, s5
	s_mul_hi_u32 s8, s1, s2
	s_addc_u32 s3, s3, s9
	s_addc_u32 s4, s8, 0
	s_mul_i32 s2, s1, s2
	s_add_u32 s2, s3, s2
	s_addc_u32 s3, 0, s4
	s_add_u32 s4, s2, 1
	s_addc_u32 s5, s3, 0
	s_add_u32 s8, s2, 2
	s_mul_i32 s10, s3, 15
	s_mul_hi_u32 s11, s2, 15
	s_addc_u32 s9, s3, 0
	s_add_i32 s11, s11, s10
	s_mul_i32 s10, s2, 15
	v_mov_b32_e32 v32, s10
	v_sub_co_u32_e32 v32, vcc, s0, v32
	s_cmp_lg_u64 vcc, 0
	s_subb_u32 s10, s1, s11
	v_subrev_co_u32_e32 v33, vcc, 15, v32
	s_cmp_lg_u64 vcc, 0
	s_subb_u32 s11, s10, 0
	v_readfirstlane_b32 s12, v33
	s_cmp_gt_u32 s12, 14
	s_cselect_b32 s12, -1, 0
	s_cmp_eq_u32 s11, 0
	s_cselect_b32 s11, s12, -1
	s_cmp_lg_u32 s11, 0
	s_cselect_b32 s4, s8, s4
	v_readfirstlane_b32 s8, v32
	s_cselect_b32 s5, s9, s5
	s_cmp_gt_u32 s8, 14
	s_cselect_b32 s8, -1, 0
	s_cmp_eq_u32 s10, 0
	s_cselect_b32 s8, s8, -1
	s_cmp_lg_u32 s8, 0
	v_mov_b32_e32 v1, v63
	s_cselect_b32 s3, s5, s3
	s_cselect_b32 s2, s4, s2
	v_cmp_eq_u64_e32 vcc, s[2:3], v[0:1]
	s_and_saveexec_b64 s[2:3], vcc
	s_cbranch_execz .LBB48_157
; %bb.104:
	v_mul_hi_u32_u24_e32 v1, 15, v0
	v_mov_b32_e32 v32, s1
	v_sub_co_u32_e32 v0, vcc, s0, v66
	s_nop 1
	v_subb_co_u32_e32 v1, vcc, v32, v1, vcc
	v_cmp_lt_i64_e32 vcc, 7, v[0:1]
	s_and_saveexec_b64 s[0:1], vcc
	s_xor_b64 s[0:1], exec, s[0:1]
	s_cbranch_execz .LBB48_130
; %bb.105:
	v_cmp_lt_i64_e32 vcc, 10, v[0:1]
	s_and_saveexec_b64 s[2:3], vcc
	s_xor_b64 s[2:3], exec, s[2:3]
	s_cbranch_execz .LBB48_119
; %bb.106:
	;; [unrolled: 5-line block ×4, first 2 shown]
	v_mov_b32_e32 v0, 0
	global_store_dwordx2 v0, v[30:31], s[6:7]
                                        ; implicit-def: $vgpr22_vgpr23_vgpr24_vgpr25
.LBB48_109:
	s_andn2_saveexec_b64 s[8:9], s[8:9]
	s_cbranch_execz .LBB48_111
; %bb.110:
	v_mov_b32_e32 v0, 0
	global_store_dwordx2 v0, v[24:25], s[6:7]
.LBB48_111:
	s_or_b64 exec, exec, s[8:9]
                                        ; implicit-def: $vgpr2_vgpr3_vgpr4_vgpr5
                                        ; implicit-def: $vgpr0_vgpr1
                                        ; implicit-def: $vgpr22_vgpr23_vgpr24_vgpr25
.LBB48_112:
	s_andn2_saveexec_b64 s[4:5], s[4:5]
	s_cbranch_execz .LBB48_118
; %bb.113:
	v_cmp_lt_i64_e32 vcc, 11, v[0:1]
	s_and_saveexec_b64 s[8:9], vcc
	s_xor_b64 s[8:9], exec, s[8:9]
	s_cbranch_execz .LBB48_115
; %bb.114:
	v_mov_b32_e32 v0, 0
	global_store_dwordx2 v0, v[22:23], s[6:7]
                                        ; implicit-def: $vgpr2_vgpr3_vgpr4_vgpr5
.LBB48_115:
	s_andn2_saveexec_b64 s[8:9], s[8:9]
	s_cbranch_execz .LBB48_117
; %bb.116:
	v_mov_b32_e32 v0, 0
	global_store_dwordx2 v0, v[4:5], s[6:7]
.LBB48_117:
	s_or_b64 exec, exec, s[8:9]
.LBB48_118:
	s_or_b64 exec, exec, s[4:5]
                                        ; implicit-def: $vgpr18_vgpr19_vgpr20_vgpr21
                                        ; implicit-def: $vgpr0_vgpr1
                                        ; implicit-def: $vgpr2_vgpr3_vgpr4_vgpr5
.LBB48_119:
	s_andn2_saveexec_b64 s[2:3], s[2:3]
	s_cbranch_execz .LBB48_129
; %bb.120:
	v_cmp_lt_i64_e32 vcc, 8, v[0:1]
	s_and_saveexec_b64 s[4:5], vcc
	s_xor_b64 s[4:5], exec, s[4:5]
	s_cbranch_execz .LBB48_126
; %bb.121:
	v_cmp_lt_i64_e32 vcc, 9, v[0:1]
	s_and_saveexec_b64 s[8:9], vcc
	s_xor_b64 s[8:9], exec, s[8:9]
	s_cbranch_execz .LBB48_123
; %bb.122:
	v_mov_b32_e32 v0, 0
	global_store_dwordx2 v0, v[2:3], s[6:7]
                                        ; implicit-def: $vgpr18_vgpr19_vgpr20_vgpr21
.LBB48_123:
	s_andn2_saveexec_b64 s[8:9], s[8:9]
	s_cbranch_execz .LBB48_125
; %bb.124:
	v_mov_b32_e32 v0, 0
	global_store_dwordx2 v0, v[20:21], s[6:7]
.LBB48_125:
	s_or_b64 exec, exec, s[8:9]
                                        ; implicit-def: $vgpr18_vgpr19_vgpr20_vgpr21
.LBB48_126:
	s_andn2_saveexec_b64 s[4:5], s[4:5]
	s_cbranch_execz .LBB48_128
; %bb.127:
	v_mov_b32_e32 v0, 0
	global_store_dwordx2 v0, v[18:19], s[6:7]
.LBB48_128:
	s_or_b64 exec, exec, s[4:5]
.LBB48_129:
	s_or_b64 exec, exec, s[2:3]
                                        ; implicit-def: $vgpr0_vgpr1
                                        ; implicit-def: $vgpr6_vgpr7_vgpr8_vgpr9
                                        ; implicit-def: $vgpr10_vgpr11_vgpr12_vgpr13
                                        ; implicit-def: $vgpr14_vgpr15_vgpr16_vgpr17
                                        ; implicit-def: $vgpr26_vgpr27_vgpr28_vgpr29
.LBB48_130:
	s_andn2_saveexec_b64 s[0:1], s[0:1]
	s_cbranch_execz .LBB48_157
; %bb.131:
	v_cmp_lt_i64_e32 vcc, 3, v[0:1]
	s_and_saveexec_b64 s[0:1], vcc
	s_xor_b64 s[0:1], exec, s[0:1]
	s_cbranch_execz .LBB48_145
; %bb.132:
	v_cmp_lt_i64_e32 vcc, 5, v[0:1]
	s_and_saveexec_b64 s[2:3], vcc
	s_xor_b64 s[2:3], exec, s[2:3]
	s_cbranch_execz .LBB48_138
; %bb.133:
	v_cmp_lt_i64_e32 vcc, 6, v[0:1]
	s_and_saveexec_b64 s[4:5], vcc
	s_xor_b64 s[4:5], exec, s[4:5]
	s_cbranch_execz .LBB48_135
; %bb.134:
	v_mov_b32_e32 v0, 0
	global_store_dwordx2 v0, v[28:29], s[6:7]
                                        ; implicit-def: $vgpr26_vgpr27_vgpr28_vgpr29
.LBB48_135:
	s_andn2_saveexec_b64 s[4:5], s[4:5]
	s_cbranch_execz .LBB48_137
; %bb.136:
	v_mov_b32_e32 v0, 0
	global_store_dwordx2 v0, v[26:27], s[6:7]
.LBB48_137:
	s_or_b64 exec, exec, s[4:5]
                                        ; implicit-def: $vgpr10_vgpr11_vgpr12_vgpr13
                                        ; implicit-def: $vgpr0_vgpr1
.LBB48_138:
	s_andn2_saveexec_b64 s[2:3], s[2:3]
	s_cbranch_execz .LBB48_144
; %bb.139:
	v_cmp_lt_i64_e32 vcc, 4, v[0:1]
	s_and_saveexec_b64 s[4:5], vcc
	s_xor_b64 s[4:5], exec, s[4:5]
	s_cbranch_execz .LBB48_141
; %bb.140:
	v_mov_b32_e32 v0, 0
	global_store_dwordx2 v0, v[12:13], s[6:7]
                                        ; implicit-def: $vgpr10_vgpr11_vgpr12_vgpr13
.LBB48_141:
	s_andn2_saveexec_b64 s[4:5], s[4:5]
	s_cbranch_execz .LBB48_143
; %bb.142:
	v_mov_b32_e32 v0, 0
	global_store_dwordx2 v0, v[10:11], s[6:7]
.LBB48_143:
	s_or_b64 exec, exec, s[4:5]
.LBB48_144:
	s_or_b64 exec, exec, s[2:3]
                                        ; implicit-def: $vgpr0_vgpr1
                                        ; implicit-def: $vgpr6_vgpr7_vgpr8_vgpr9
                                        ; implicit-def: $vgpr14_vgpr15_vgpr16_vgpr17
.LBB48_145:
	s_andn2_saveexec_b64 s[0:1], s[0:1]
	s_cbranch_execz .LBB48_157
; %bb.146:
	v_cmp_lt_i64_e32 vcc, 1, v[0:1]
	s_and_saveexec_b64 s[0:1], vcc
	s_xor_b64 s[0:1], exec, s[0:1]
	s_cbranch_execz .LBB48_152
; %bb.147:
	v_cmp_lt_i64_e32 vcc, 2, v[0:1]
	s_and_saveexec_b64 s[2:3], vcc
	s_xor_b64 s[2:3], exec, s[2:3]
	s_cbranch_execz .LBB48_149
; %bb.148:
	v_mov_b32_e32 v0, 0
	global_store_dwordx2 v0, v[16:17], s[6:7]
                                        ; implicit-def: $vgpr14_vgpr15_vgpr16_vgpr17
.LBB48_149:
	s_andn2_saveexec_b64 s[2:3], s[2:3]
	s_cbranch_execz .LBB48_151
; %bb.150:
	v_mov_b32_e32 v0, 0
	global_store_dwordx2 v0, v[14:15], s[6:7]
.LBB48_151:
	s_or_b64 exec, exec, s[2:3]
                                        ; implicit-def: $vgpr6_vgpr7_vgpr8_vgpr9
                                        ; implicit-def: $vgpr0_vgpr1
.LBB48_152:
	s_andn2_saveexec_b64 s[0:1], s[0:1]
	s_cbranch_execz .LBB48_157
; %bb.153:
	v_cmp_ne_u64_e32 vcc, 1, v[0:1]
	s_and_saveexec_b64 s[0:1], vcc
	s_xor_b64 s[0:1], exec, s[0:1]
	s_cbranch_execz .LBB48_155
; %bb.154:
	v_mov_b32_e32 v0, 0
	global_store_dwordx2 v0, v[6:7], s[6:7]
                                        ; implicit-def: $vgpr6_vgpr7_vgpr8_vgpr9
.LBB48_155:
	s_andn2_saveexec_b64 s[0:1], s[0:1]
	s_cbranch_execz .LBB48_157
; %bb.156:
	v_mov_b32_e32 v0, 0
	global_store_dwordx2 v0, v[8:9], s[6:7]
.LBB48_157:
	s_endpgm
	.section	.rodata,"a",@progbits
	.p2align	6, 0x0
	.amdhsa_kernel _ZN7rocprim17ROCPRIM_304000_NS6detail20lookback_scan_kernelILNS1_25lookback_scan_determinismE0ELb0ENS1_19wrapped_scan_configINS0_14default_configEdEEPKdPdSt10multipliesIdEddNS1_19lookback_scan_stateIdLb0ELb1EEEEEvT2_T3_mT5_T4_T7_jPT6_SK_bb
		.amdhsa_group_segment_fixed_size 30720
		.amdhsa_private_segment_fixed_size 0
		.amdhsa_kernarg_size 76
		.amdhsa_user_sgpr_count 2
		.amdhsa_user_sgpr_dispatch_ptr 0
		.amdhsa_user_sgpr_queue_ptr 0
		.amdhsa_user_sgpr_kernarg_segment_ptr 1
		.amdhsa_user_sgpr_dispatch_id 0
		.amdhsa_user_sgpr_kernarg_preload_length 0
		.amdhsa_user_sgpr_kernarg_preload_offset 0
		.amdhsa_user_sgpr_private_segment_size 0
		.amdhsa_uses_dynamic_stack 0
		.amdhsa_enable_private_segment 0
		.amdhsa_system_sgpr_workgroup_id_x 1
		.amdhsa_system_sgpr_workgroup_id_y 0
		.amdhsa_system_sgpr_workgroup_id_z 0
		.amdhsa_system_sgpr_workgroup_info 0
		.amdhsa_system_vgpr_workitem_id 0
		.amdhsa_next_free_vgpr 67
		.amdhsa_next_free_sgpr 68
		.amdhsa_accum_offset 68
		.amdhsa_reserve_vcc 1
		.amdhsa_float_round_mode_32 0
		.amdhsa_float_round_mode_16_64 0
		.amdhsa_float_denorm_mode_32 3
		.amdhsa_float_denorm_mode_16_64 3
		.amdhsa_dx10_clamp 1
		.amdhsa_ieee_mode 1
		.amdhsa_fp16_overflow 0
		.amdhsa_tg_split 0
		.amdhsa_exception_fp_ieee_invalid_op 0
		.amdhsa_exception_fp_denorm_src 0
		.amdhsa_exception_fp_ieee_div_zero 0
		.amdhsa_exception_fp_ieee_overflow 0
		.amdhsa_exception_fp_ieee_underflow 0
		.amdhsa_exception_fp_ieee_inexact 0
		.amdhsa_exception_int_div_zero 0
	.end_amdhsa_kernel
	.section	.text._ZN7rocprim17ROCPRIM_304000_NS6detail20lookback_scan_kernelILNS1_25lookback_scan_determinismE0ELb0ENS1_19wrapped_scan_configINS0_14default_configEdEEPKdPdSt10multipliesIdEddNS1_19lookback_scan_stateIdLb0ELb1EEEEEvT2_T3_mT5_T4_T7_jPT6_SK_bb,"axG",@progbits,_ZN7rocprim17ROCPRIM_304000_NS6detail20lookback_scan_kernelILNS1_25lookback_scan_determinismE0ELb0ENS1_19wrapped_scan_configINS0_14default_configEdEEPKdPdSt10multipliesIdEddNS1_19lookback_scan_stateIdLb0ELb1EEEEEvT2_T3_mT5_T4_T7_jPT6_SK_bb,comdat
.Lfunc_end48:
	.size	_ZN7rocprim17ROCPRIM_304000_NS6detail20lookback_scan_kernelILNS1_25lookback_scan_determinismE0ELb0ENS1_19wrapped_scan_configINS0_14default_configEdEEPKdPdSt10multipliesIdEddNS1_19lookback_scan_stateIdLb0ELb1EEEEEvT2_T3_mT5_T4_T7_jPT6_SK_bb, .Lfunc_end48-_ZN7rocprim17ROCPRIM_304000_NS6detail20lookback_scan_kernelILNS1_25lookback_scan_determinismE0ELb0ENS1_19wrapped_scan_configINS0_14default_configEdEEPKdPdSt10multipliesIdEddNS1_19lookback_scan_stateIdLb0ELb1EEEEEvT2_T3_mT5_T4_T7_jPT6_SK_bb
                                        ; -- End function
	.section	.AMDGPU.csdata,"",@progbits
; Kernel info:
; codeLenInByte = 7024
; NumSgprs: 74
; NumVgprs: 67
; NumAgprs: 0
; TotalNumVgprs: 67
; ScratchSize: 0
; MemoryBound: 1
; FloatMode: 240
; IeeeMode: 1
; LDSByteSize: 30720 bytes/workgroup (compile time only)
; SGPRBlocks: 9
; VGPRBlocks: 8
; NumSGPRsForWavesPerEU: 74
; NumVGPRsForWavesPerEU: 67
; AccumOffset: 68
; Occupancy: 2
; WaveLimiterHint : 1
; COMPUTE_PGM_RSRC2:SCRATCH_EN: 0
; COMPUTE_PGM_RSRC2:USER_SGPR: 2
; COMPUTE_PGM_RSRC2:TRAP_HANDLER: 0
; COMPUTE_PGM_RSRC2:TGID_X_EN: 1
; COMPUTE_PGM_RSRC2:TGID_Y_EN: 0
; COMPUTE_PGM_RSRC2:TGID_Z_EN: 0
; COMPUTE_PGM_RSRC2:TIDIG_COMP_CNT: 0
; COMPUTE_PGM_RSRC3_GFX90A:ACCUM_OFFSET: 16
; COMPUTE_PGM_RSRC3_GFX90A:TG_SPLIT: 0
	.section	.text._ZN7rocprim17ROCPRIM_304000_NS6detail16transform_kernelINS1_24wrapped_transform_configINS0_14default_configEdEEdPdS6_NS0_8identityIdEEEEvT1_mT2_T3_,"axG",@progbits,_ZN7rocprim17ROCPRIM_304000_NS6detail16transform_kernelINS1_24wrapped_transform_configINS0_14default_configEdEEdPdS6_NS0_8identityIdEEEEvT1_mT2_T3_,comdat
	.protected	_ZN7rocprim17ROCPRIM_304000_NS6detail16transform_kernelINS1_24wrapped_transform_configINS0_14default_configEdEEdPdS6_NS0_8identityIdEEEEvT1_mT2_T3_ ; -- Begin function _ZN7rocprim17ROCPRIM_304000_NS6detail16transform_kernelINS1_24wrapped_transform_configINS0_14default_configEdEEdPdS6_NS0_8identityIdEEEEvT1_mT2_T3_
	.globl	_ZN7rocprim17ROCPRIM_304000_NS6detail16transform_kernelINS1_24wrapped_transform_configINS0_14default_configEdEEdPdS6_NS0_8identityIdEEEEvT1_mT2_T3_
	.p2align	8
	.type	_ZN7rocprim17ROCPRIM_304000_NS6detail16transform_kernelINS1_24wrapped_transform_configINS0_14default_configEdEEdPdS6_NS0_8identityIdEEEEvT1_mT2_T3_,@function
_ZN7rocprim17ROCPRIM_304000_NS6detail16transform_kernelINS1_24wrapped_transform_configINS0_14default_configEdEEdPdS6_NS0_8identityIdEEEEvT1_mT2_T3_: ; @_ZN7rocprim17ROCPRIM_304000_NS6detail16transform_kernelINS1_24wrapped_transform_configINS0_14default_configEdEEdPdS6_NS0_8identityIdEEEEvT1_mT2_T3_
; %bb.0:
	s_load_dword s3, s[0:1], 0x20
	s_load_dwordx4 s[4:7], s[0:1], 0x0
	s_load_dwordx2 s[8:9], s[0:1], 0x10
	s_lshl_b32 s0, s2, 12
	s_mov_b32 s1, 0
	s_waitcnt lgkmcnt(0)
	s_add_i32 s3, s3, -1
	s_lshl_b64 s[10:11], s[0:1], 3
	s_add_u32 s4, s4, s10
	s_addc_u32 s5, s5, s11
	v_mov_b32_e32 v11, 0
	v_lshlrev_b32_e32 v10, 3, v0
	s_cmp_lg_u32 s2, s3
	v_lshl_add_u64 v[12:13], s[4:5], 0, v[10:11]
	s_cbranch_scc0 .LBB49_2
; %bb.1:
	v_add_co_u32_e32 v2, vcc, 0x2000, v12
	s_add_u32 s4, s8, s10
	s_nop 0
	v_addc_co_u32_e32 v3, vcc, 0, v13, vcc
	v_add_co_u32_e32 v4, vcc, 0x4000, v12
	s_addc_u32 s5, s9, s11
	s_nop 0
	v_addc_co_u32_e32 v5, vcc, 0, v13, vcc
	global_load_dwordx2 v[6:7], v[12:13], off
	global_load_dwordx2 v[14:15], v[2:3], off
	;; [unrolled: 1-line block ×3, first 2 shown]
	v_add_co_u32_e32 v2, vcc, 0x6000, v12
	s_nop 1
	v_addc_co_u32_e32 v3, vcc, 0, v13, vcc
	global_load_dwordx2 v[8:9], v[2:3], off
	v_lshl_add_u64 v[2:3], s[4:5], 0, v[10:11]
	v_add_co_u32_e32 v4, vcc, 0x2000, v2
	s_mov_b64 s[12:13], -1
	s_nop 0
	v_addc_co_u32_e32 v5, vcc, 0, v3, vcc
	v_add_co_u32_e32 v2, vcc, 0x4000, v2
	s_nop 1
	v_addc_co_u32_e32 v3, vcc, 0, v3, vcc
	s_waitcnt vmcnt(3)
	global_store_dwordx2 v10, v[6:7], s[4:5]
	s_waitcnt vmcnt(3)
	global_store_dwordx2 v[4:5], v[14:15], off
	s_waitcnt vmcnt(3)
	global_store_dwordx2 v[2:3], v[16:17], off
	s_cbranch_execz .LBB49_3
	s_branch .LBB49_16
.LBB49_2:
	s_mov_b64 s[12:13], 0
                                        ; implicit-def: $vgpr8_vgpr9
.LBB49_3:
	s_sub_i32 s12, s6, s0
	v_cmp_gt_u32_e64 s[0:1], s12, v0
                                        ; implicit-def: $vgpr2_vgpr3_vgpr4_vgpr5_vgpr6_vgpr7_vgpr8_vgpr9
	s_and_saveexec_b64 s[2:3], s[0:1]
	s_cbranch_execz .LBB49_5
; %bb.4:
	global_load_dwordx2 v[2:3], v[12:13], off
.LBB49_5:
	s_or_b64 exec, exec, s[2:3]
	v_or_b32_e32 v1, 0x400, v0
	v_cmp_gt_u32_e64 s[2:3], s12, v1
	s_and_saveexec_b64 s[4:5], s[2:3]
	s_cbranch_execz .LBB49_7
; %bb.6:
	v_add_co_u32_e32 v4, vcc, 0x2000, v12
	s_nop 1
	v_addc_co_u32_e32 v5, vcc, 0, v13, vcc
	global_load_dwordx2 v[4:5], v[4:5], off
.LBB49_7:
	s_or_b64 exec, exec, s[4:5]
	v_or_b32_e32 v1, 0x800, v0
	v_cmp_gt_u32_e64 s[4:5], s12, v1
	s_and_saveexec_b64 s[6:7], s[4:5]
	s_cbranch_execz .LBB49_9
; %bb.8:
	v_add_co_u32_e32 v6, vcc, 0x4000, v12
	s_nop 1
	v_addc_co_u32_e32 v7, vcc, 0, v13, vcc
	global_load_dwordx2 v[6:7], v[6:7], off
.LBB49_9:
	;; [unrolled: 11-line block ×3, first 2 shown]
	s_or_b64 exec, exec, s[6:7]
	s_add_u32 s6, s8, s10
	s_addc_u32 s7, s9, s11
	v_mov_b32_e32 v11, 0
	v_lshl_add_u64 v[0:1], s[6:7], 0, v[10:11]
	s_and_saveexec_b64 s[6:7], s[0:1]
	s_cbranch_execnz .LBB49_19
; %bb.12:
	s_or_b64 exec, exec, s[6:7]
	s_and_saveexec_b64 s[0:1], s[2:3]
	s_cbranch_execnz .LBB49_20
.LBB49_13:
	s_or_b64 exec, exec, s[0:1]
	s_and_saveexec_b64 s[0:1], s[4:5]
	s_cbranch_execz .LBB49_15
.LBB49_14:
	v_add_co_u32_e32 v0, vcc, 0x4000, v0
	s_nop 1
	v_addc_co_u32_e32 v1, vcc, 0, v1, vcc
	s_waitcnt vmcnt(0)
	global_store_dwordx2 v[0:1], v[6:7], off
.LBB49_15:
	s_or_b64 exec, exec, s[0:1]
.LBB49_16:
	s_and_saveexec_b64 s[0:1], s[12:13]
	s_cbranch_execnz .LBB49_18
; %bb.17:
	s_endpgm
.LBB49_18:
	s_add_u32 s0, s8, s10
	s_addc_u32 s1, s9, s11
	v_mov_b32_e32 v11, 0
	v_lshl_add_u64 v[0:1], s[0:1], 0, v[10:11]
	v_add_co_u32_e32 v0, vcc, 0x6000, v0
	s_nop 1
	v_addc_co_u32_e32 v1, vcc, 0, v1, vcc
	s_waitcnt vmcnt(0)
	global_store_dwordx2 v[0:1], v[8:9], off
	s_endpgm
.LBB49_19:
	s_waitcnt vmcnt(0)
	global_store_dwordx2 v[0:1], v[2:3], off
	s_or_b64 exec, exec, s[6:7]
	s_and_saveexec_b64 s[0:1], s[2:3]
	s_cbranch_execz .LBB49_13
.LBB49_20:
	s_waitcnt vmcnt(0)
	v_add_co_u32_e32 v2, vcc, 0x2000, v0
	s_nop 1
	v_addc_co_u32_e32 v3, vcc, 0, v1, vcc
	global_store_dwordx2 v[2:3], v[4:5], off
	s_or_b64 exec, exec, s[0:1]
	s_and_saveexec_b64 s[0:1], s[4:5]
	s_cbranch_execnz .LBB49_14
	s_branch .LBB49_15
	.section	.rodata,"a",@progbits
	.p2align	6, 0x0
	.amdhsa_kernel _ZN7rocprim17ROCPRIM_304000_NS6detail16transform_kernelINS1_24wrapped_transform_configINS0_14default_configEdEEdPdS6_NS0_8identityIdEEEEvT1_mT2_T3_
		.amdhsa_group_segment_fixed_size 0
		.amdhsa_private_segment_fixed_size 0
		.amdhsa_kernarg_size 288
		.amdhsa_user_sgpr_count 2
		.amdhsa_user_sgpr_dispatch_ptr 0
		.amdhsa_user_sgpr_queue_ptr 0
		.amdhsa_user_sgpr_kernarg_segment_ptr 1
		.amdhsa_user_sgpr_dispatch_id 0
		.amdhsa_user_sgpr_kernarg_preload_length 0
		.amdhsa_user_sgpr_kernarg_preload_offset 0
		.amdhsa_user_sgpr_private_segment_size 0
		.amdhsa_uses_dynamic_stack 0
		.amdhsa_enable_private_segment 0
		.amdhsa_system_sgpr_workgroup_id_x 1
		.amdhsa_system_sgpr_workgroup_id_y 0
		.amdhsa_system_sgpr_workgroup_id_z 0
		.amdhsa_system_sgpr_workgroup_info 0
		.amdhsa_system_vgpr_workitem_id 0
		.amdhsa_next_free_vgpr 18
		.amdhsa_next_free_sgpr 14
		.amdhsa_accum_offset 20
		.amdhsa_reserve_vcc 1
		.amdhsa_float_round_mode_32 0
		.amdhsa_float_round_mode_16_64 0
		.amdhsa_float_denorm_mode_32 3
		.amdhsa_float_denorm_mode_16_64 3
		.amdhsa_dx10_clamp 1
		.amdhsa_ieee_mode 1
		.amdhsa_fp16_overflow 0
		.amdhsa_tg_split 0
		.amdhsa_exception_fp_ieee_invalid_op 0
		.amdhsa_exception_fp_denorm_src 0
		.amdhsa_exception_fp_ieee_div_zero 0
		.amdhsa_exception_fp_ieee_overflow 0
		.amdhsa_exception_fp_ieee_underflow 0
		.amdhsa_exception_fp_ieee_inexact 0
		.amdhsa_exception_int_div_zero 0
	.end_amdhsa_kernel
	.section	.text._ZN7rocprim17ROCPRIM_304000_NS6detail16transform_kernelINS1_24wrapped_transform_configINS0_14default_configEdEEdPdS6_NS0_8identityIdEEEEvT1_mT2_T3_,"axG",@progbits,_ZN7rocprim17ROCPRIM_304000_NS6detail16transform_kernelINS1_24wrapped_transform_configINS0_14default_configEdEEdPdS6_NS0_8identityIdEEEEvT1_mT2_T3_,comdat
.Lfunc_end49:
	.size	_ZN7rocprim17ROCPRIM_304000_NS6detail16transform_kernelINS1_24wrapped_transform_configINS0_14default_configEdEEdPdS6_NS0_8identityIdEEEEvT1_mT2_T3_, .Lfunc_end49-_ZN7rocprim17ROCPRIM_304000_NS6detail16transform_kernelINS1_24wrapped_transform_configINS0_14default_configEdEEdPdS6_NS0_8identityIdEEEEvT1_mT2_T3_
                                        ; -- End function
	.section	.AMDGPU.csdata,"",@progbits
; Kernel info:
; codeLenInByte = 660
; NumSgprs: 20
; NumVgprs: 18
; NumAgprs: 0
; TotalNumVgprs: 18
; ScratchSize: 0
; MemoryBound: 1
; FloatMode: 240
; IeeeMode: 1
; LDSByteSize: 0 bytes/workgroup (compile time only)
; SGPRBlocks: 2
; VGPRBlocks: 2
; NumSGPRsForWavesPerEU: 20
; NumVGPRsForWavesPerEU: 18
; AccumOffset: 20
; Occupancy: 8
; WaveLimiterHint : 1
; COMPUTE_PGM_RSRC2:SCRATCH_EN: 0
; COMPUTE_PGM_RSRC2:USER_SGPR: 2
; COMPUTE_PGM_RSRC2:TRAP_HANDLER: 0
; COMPUTE_PGM_RSRC2:TGID_X_EN: 1
; COMPUTE_PGM_RSRC2:TGID_Y_EN: 0
; COMPUTE_PGM_RSRC2:TGID_Z_EN: 0
; COMPUTE_PGM_RSRC2:TIDIG_COMP_CNT: 0
; COMPUTE_PGM_RSRC3_GFX90A:ACCUM_OFFSET: 4
; COMPUTE_PGM_RSRC3_GFX90A:TG_SPLIT: 0
	.section	.text._ZN7rocprim17ROCPRIM_304000_NS6detail18single_scan_kernelILb0ENS1_19wrapped_scan_configINS0_14default_configEdEEPKdPdSt10multipliesIdEddEEvT1_mT4_T2_T3_,"axG",@progbits,_ZN7rocprim17ROCPRIM_304000_NS6detail18single_scan_kernelILb0ENS1_19wrapped_scan_configINS0_14default_configEdEEPKdPdSt10multipliesIdEddEEvT1_mT4_T2_T3_,comdat
	.protected	_ZN7rocprim17ROCPRIM_304000_NS6detail18single_scan_kernelILb0ENS1_19wrapped_scan_configINS0_14default_configEdEEPKdPdSt10multipliesIdEddEEvT1_mT4_T2_T3_ ; -- Begin function _ZN7rocprim17ROCPRIM_304000_NS6detail18single_scan_kernelILb0ENS1_19wrapped_scan_configINS0_14default_configEdEEPKdPdSt10multipliesIdEddEEvT1_mT4_T2_T3_
	.globl	_ZN7rocprim17ROCPRIM_304000_NS6detail18single_scan_kernelILb0ENS1_19wrapped_scan_configINS0_14default_configEdEEPKdPdSt10multipliesIdEddEEvT1_mT4_T2_T3_
	.p2align	8
	.type	_ZN7rocprim17ROCPRIM_304000_NS6detail18single_scan_kernelILb0ENS1_19wrapped_scan_configINS0_14default_configEdEEPKdPdSt10multipliesIdEddEEvT1_mT4_T2_T3_,@function
_ZN7rocprim17ROCPRIM_304000_NS6detail18single_scan_kernelILb0ENS1_19wrapped_scan_configINS0_14default_configEdEEPKdPdSt10multipliesIdEddEEvT1_mT4_T2_T3_: ; @_ZN7rocprim17ROCPRIM_304000_NS6detail18single_scan_kernelILb0ENS1_19wrapped_scan_configINS0_14default_configEdEEPKdPdSt10multipliesIdEddEEvT1_mT4_T2_T3_
; %bb.0:
	s_load_dwordx4 s[28:31], s[0:1], 0x0
	v_mov_b32_e32 v35, 0
	v_lshlrev_b32_e32 v34, 3, v0
	s_waitcnt lgkmcnt(0)
	s_load_dwordx2 s[36:37], s[28:29], 0x0
	v_lshl_add_u64 v[36:37], s[28:29], 0, v[34:35]
	v_cmp_gt_u32_e64 s[2:3], s30, v0
	s_waitcnt lgkmcnt(0)
	s_mov_b32 s38, s36
	s_mov_b32 s39, s37
	;; [unrolled: 1-line block ×28, first 2 shown]
	v_mov_b64_e32 v[2:3], s[36:37]
	v_mov_b64_e32 v[4:5], s[38:39]
	;; [unrolled: 1-line block ×16, first 2 shown]
	s_and_saveexec_b64 s[4:5], s[2:3]
	s_cbranch_execz .LBB50_2
; %bb.1:
	global_load_dwordx2 v[2:3], v[36:37], off
	v_mov_b32_e32 v4, s36
	v_mov_b32_e32 v5, s37
	;; [unrolled: 1-line block ×28, first 2 shown]
.LBB50_2:
	s_or_b64 exec, exec, s[4:5]
	v_or_b32_e32 v1, 0x100, v0
	v_cmp_gt_u32_e64 s[4:5], s30, v1
	s_and_saveexec_b64 s[6:7], s[4:5]
	s_cbranch_execz .LBB50_4
; %bb.3:
	global_load_dwordx2 v[4:5], v[36:37], off offset:2048
.LBB50_4:
	s_or_b64 exec, exec, s[6:7]
	v_or_b32_e32 v1, 0x200, v0
	v_cmp_gt_u32_e64 s[6:7], s30, v1
	s_and_saveexec_b64 s[8:9], s[6:7]
	s_cbranch_execz .LBB50_6
; %bb.5:
	v_add_co_u32_e32 v6, vcc, 0x1000, v36
	s_nop 1
	v_addc_co_u32_e32 v7, vcc, 0, v37, vcc
	global_load_dwordx2 v[6:7], v[6:7], off
.LBB50_6:
	s_or_b64 exec, exec, s[8:9]
	v_or_b32_e32 v1, 0x300, v0
	v_cmp_gt_u32_e64 s[8:9], s30, v1
	s_and_saveexec_b64 s[10:11], s[8:9]
	s_cbranch_execz .LBB50_8
; %bb.7:
	v_add_co_u32_e32 v8, vcc, 0x1000, v36
	s_nop 1
	v_addc_co_u32_e32 v9, vcc, 0, v37, vcc
	global_load_dwordx2 v[8:9], v[8:9], off offset:2048
.LBB50_8:
	s_or_b64 exec, exec, s[10:11]
	v_or_b32_e32 v1, 0x400, v0
	v_cmp_gt_u32_e64 s[10:11], s30, v1
	s_and_saveexec_b64 s[12:13], s[10:11]
	s_cbranch_execz .LBB50_10
; %bb.9:
	v_add_co_u32_e32 v10, vcc, 0x2000, v36
	s_nop 1
	v_addc_co_u32_e32 v11, vcc, 0, v37, vcc
	global_load_dwordx2 v[10:11], v[10:11], off
.LBB50_10:
	s_or_b64 exec, exec, s[12:13]
	v_or_b32_e32 v1, 0x500, v0
	v_cmp_gt_u32_e64 s[12:13], s30, v1
	s_and_saveexec_b64 s[14:15], s[12:13]
	s_cbranch_execz .LBB50_12
; %bb.11:
	v_add_co_u32_e32 v12, vcc, 0x2000, v36
	s_nop 1
	v_addc_co_u32_e32 v13, vcc, 0, v37, vcc
	global_load_dwordx2 v[12:13], v[12:13], off offset:2048
.LBB50_12:
	;; [unrolled: 22-line block ×6, first 2 shown]
	s_or_b64 exec, exec, s[34:35]
	v_or_b32_e32 v1, 0xe00, v0
	v_cmp_gt_u32_e64 s[30:31], s30, v1
	s_and_saveexec_b64 s[34:35], s[30:31]
	s_cbranch_execz .LBB50_30
; %bb.29:
	v_add_co_u32_e32 v30, vcc, 0x7000, v36
	s_nop 1
	v_addc_co_u32_e32 v31, vcc, 0, v37, vcc
	global_load_dwordx2 v[30:31], v[30:31], off
.LBB50_30:
	s_or_b64 exec, exec, s[34:35]
	s_movk_i32 s33, 0x70
	v_mad_u32_u24 v1, v0, s33, v34
	s_waitcnt vmcnt(0)
	ds_write2st64_b64 v34, v[2:3], v[4:5] offset1:4
	ds_write2st64_b64 v34, v[6:7], v[8:9] offset0:8 offset1:12
	ds_write2st64_b64 v34, v[10:11], v[12:13] offset0:16 offset1:20
	;; [unrolled: 1-line block ×6, first 2 shown]
	ds_write_b64 v34, v[30:31] offset:28672
	s_waitcnt lgkmcnt(0)
	s_barrier
	ds_read2_b64 v[2:5], v1 offset1:1
	ds_read2_b64 v[6:9], v1 offset0:2 offset1:3
	ds_read2_b64 v[10:13], v1 offset0:4 offset1:5
	;; [unrolled: 1-line block ×6, first 2 shown]
	ds_read_b64 v[30:31], v1 offset:112
	s_waitcnt lgkmcnt(7)
	v_mul_f64 v[32:33], v[2:3], v[4:5]
	s_waitcnt lgkmcnt(6)
	v_mul_f64 v[32:33], v[32:33], v[6:7]
	v_mul_f64 v[32:33], v[32:33], v[8:9]
	s_waitcnt lgkmcnt(5)
	v_mul_f64 v[32:33], v[32:33], v[10:11]
	;; [unrolled: 3-line block ×6, first 2 shown]
	v_lshrrev_b32_e32 v35, 2, v0
	v_mul_f64 v[32:33], v[32:33], v[28:29]
	v_and_b32_e32 v35, 56, v35
	s_waitcnt lgkmcnt(0)
	v_mul_f64 v[32:33], v[32:33], v[30:31]
	v_add_u32_e32 v35, v34, v35
	v_cmp_gt_u32_e32 vcc, 64, v0
	s_barrier
	ds_write_b64 v35, v[32:33]
	s_waitcnt lgkmcnt(0)
	s_barrier
	s_and_saveexec_b64 s[34:35], vcc
	s_cbranch_execz .LBB50_32
; %bb.31:
	v_lshlrev_b32_e32 v35, 2, v0
	v_lshrrev_b32_e32 v36, 3, v0
	v_add_lshl_u32 v35, v36, v35, 3
	ds_read2_b64 v[36:39], v35 offset1:1
	ds_read2_b64 v[40:43], v35 offset0:2 offset1:3
	v_mbcnt_lo_u32_b32 v44, -1, 0
	v_mbcnt_hi_u32_b32 v48, -1, v44
	v_and_b32_e32 v49, 15, v48
	s_waitcnt lgkmcnt(1)
	v_mul_f64 v[44:45], v[36:37], v[38:39]
	s_waitcnt lgkmcnt(0)
	v_mul_f64 v[44:45], v[44:45], v[40:41]
	v_mul_f64 v[44:45], v[44:45], v[42:43]
	v_cmp_eq_u32_e32 vcc, 0, v49
	s_nop 0
	v_mov_b32_dpp v46, v44 row_shr:1 row_mask:0xf bank_mask:0xf
	v_mov_b32_dpp v47, v45 row_shr:1 row_mask:0xf bank_mask:0xf
	v_mul_f64 v[46:47], v[44:45], v[46:47]
	v_cndmask_b32_e32 v45, v47, v45, vcc
	v_cndmask_b32_e32 v44, v46, v44, vcc
	v_cmp_lt_u32_e32 vcc, 1, v49
	v_mov_b32_dpp v47, v45 row_shr:2 row_mask:0xf bank_mask:0xf
	v_mov_b32_dpp v46, v44 row_shr:2 row_mask:0xf bank_mask:0xf
	v_mul_f64 v[46:47], v[44:45], v[46:47]
	v_cndmask_b32_e32 v44, v44, v46, vcc
	v_cndmask_b32_e32 v45, v45, v47, vcc
	v_cmp_lt_u32_e32 vcc, 3, v49
	;; [unrolled: 6-line block ×3, first 2 shown]
	v_mov_b32_dpp v46, v44 row_shr:8 row_mask:0xf bank_mask:0xf
	v_mov_b32_dpp v47, v45 row_shr:8 row_mask:0xf bank_mask:0xf
	v_mul_f64 v[46:47], v[44:45], v[46:47]
	v_cndmask_b32_e32 v44, v44, v46, vcc
	v_cndmask_b32_e32 v45, v45, v47, vcc
	v_and_b32_e32 v49, 16, v48
	v_mov_b32_dpp v46, v44 row_bcast:15 row_mask:0xf bank_mask:0xf
	v_mov_b32_dpp v47, v45 row_bcast:15 row_mask:0xf bank_mask:0xf
	v_mul_f64 v[46:47], v[44:45], v[46:47]
	v_cmp_eq_u32_e32 vcc, 0, v49
	s_nop 1
	v_cndmask_b32_e32 v45, v47, v45, vcc
	v_cndmask_b32_e32 v44, v46, v44, vcc
	v_cmp_lt_u32_e32 vcc, 31, v48
	v_mov_b32_dpp v47, v45 row_bcast:31 row_mask:0xf bank_mask:0xf
	v_mov_b32_dpp v46, v44 row_bcast:31 row_mask:0xf bank_mask:0xf
	v_mul_f64 v[46:47], v[44:45], v[46:47]
	v_cndmask_b32_e32 v45, v45, v47, vcc
	v_cndmask_b32_e32 v44, v44, v46, vcc
	v_add_u32_e32 v46, -1, v48
	v_and_b32_e32 v47, 64, v48
	v_cmp_lt_i32_e32 vcc, v46, v47
	s_nop 1
	v_cndmask_b32_e32 v46, v46, v48, vcc
	v_lshlrev_b32_e32 v46, 2, v46
	ds_bpermute_b32 v44, v46, v44
	ds_bpermute_b32 v45, v46, v45
	v_cmp_eq_u32_e32 vcc, 0, v0
	s_waitcnt lgkmcnt(0)
	v_mul_f64 v[36:37], v[36:37], v[44:45]
	v_cndmask_b32_e32 v37, v37, v33, vcc
	v_cndmask_b32_e32 v36, v36, v32, vcc
	v_mul_f64 v[38:39], v[38:39], v[36:37]
	ds_write2_b64 v35, v[36:37], v[38:39] offset1:1
	v_mul_f64 v[36:37], v[40:41], v[38:39]
	v_mul_f64 v[38:39], v[42:43], v[36:37]
	ds_write2_b64 v35, v[36:37], v[38:39] offset0:2 offset1:3
.LBB50_32:
	s_or_b64 exec, exec, s[34:35]
	v_cmp_eq_u32_e32 vcc, 0, v0
	v_cmp_ne_u32_e64 s[34:35], 0, v0
	s_waitcnt lgkmcnt(0)
	s_barrier
	s_and_saveexec_b64 s[36:37], s[34:35]
	s_cbranch_execz .LBB50_34
; %bb.33:
	v_add_u32_e32 v32, -1, v0
	v_lshrrev_b32_e32 v33, 5, v32
	v_add_lshl_u32 v32, v33, v32, 3
	ds_read_b64 v[32:33], v32
.LBB50_34:
	s_or_b64 exec, exec, s[36:37]
	s_waitcnt lgkmcnt(0)
	v_mul_f64 v[32:33], v[2:3], v[32:33]
	v_cndmask_b32_e32 v3, v33, v3, vcc
	v_cndmask_b32_e32 v2, v32, v2, vcc
	v_mul_f64 v[4:5], v[4:5], v[2:3]
	v_mul_f64 v[6:7], v[6:7], v[4:5]
	;; [unrolled: 1-line block ×13, first 2 shown]
	s_movk_i32 s33, 0xff90
	v_mul_f64 v[30:31], v[30:31], v[28:29]
	s_barrier
	ds_write2_b64 v1, v[2:3], v[4:5] offset1:1
	ds_write2_b64 v1, v[6:7], v[8:9] offset0:2 offset1:3
	ds_write2_b64 v1, v[10:11], v[12:13] offset0:4 offset1:5
	ds_write2_b64 v1, v[14:15], v[16:17] offset0:6 offset1:7
	ds_write2_b64 v1, v[18:19], v[20:21] offset0:8 offset1:9
	ds_write2_b64 v1, v[22:23], v[24:25] offset0:10 offset1:11
	ds_write2_b64 v1, v[26:27], v[28:29] offset0:12 offset1:13
	ds_write_b64 v1, v[30:31] offset:112
	v_mad_i32_i24 v24, v0, s33, v1
	s_waitcnt lgkmcnt(0)
	s_barrier
	ds_read2st64_b64 v[20:23], v24 offset0:4 offset1:8
	ds_read2st64_b64 v[16:19], v24 offset0:12 offset1:20
	;; [unrolled: 1-line block ×6, first 2 shown]
	ds_read_b64 v[28:29], v34 offset:24576
	ds_read_b64 v[24:25], v24 offset:28672
	s_load_dwordx2 s[0:1], s[0:1], 0x18
	v_mov_b32_e32 v35, 0
	s_waitcnt lgkmcnt(0)
	v_lshl_add_u64 v[26:27], s[0:1], 0, v[34:35]
	s_and_saveexec_b64 s[0:1], s[2:3]
	s_cbranch_execnz .LBB50_50
; %bb.35:
	s_or_b64 exec, exec, s[0:1]
	s_and_saveexec_b64 s[0:1], s[4:5]
	s_cbranch_execnz .LBB50_51
.LBB50_36:
	s_or_b64 exec, exec, s[0:1]
	s_and_saveexec_b64 s[0:1], s[6:7]
	s_cbranch_execnz .LBB50_52
.LBB50_37:
	s_or_b64 exec, exec, s[0:1]
	s_and_saveexec_b64 s[0:1], s[8:9]
	s_cbranch_execnz .LBB50_53
.LBB50_38:
	s_or_b64 exec, exec, s[0:1]
	s_and_saveexec_b64 s[0:1], s[10:11]
	s_cbranch_execnz .LBB50_54
.LBB50_39:
	s_or_b64 exec, exec, s[0:1]
	s_and_saveexec_b64 s[0:1], s[12:13]
	s_cbranch_execnz .LBB50_55
.LBB50_40:
	s_or_b64 exec, exec, s[0:1]
	s_and_saveexec_b64 s[0:1], s[14:15]
	s_cbranch_execnz .LBB50_56
.LBB50_41:
	s_or_b64 exec, exec, s[0:1]
	s_and_saveexec_b64 s[0:1], s[16:17]
	s_cbranch_execnz .LBB50_57
.LBB50_42:
	s_or_b64 exec, exec, s[0:1]
	s_and_saveexec_b64 s[0:1], s[18:19]
	s_cbranch_execnz .LBB50_58
.LBB50_43:
	s_or_b64 exec, exec, s[0:1]
	s_and_saveexec_b64 s[0:1], s[20:21]
	s_cbranch_execnz .LBB50_59
.LBB50_44:
	s_or_b64 exec, exec, s[0:1]
	s_and_saveexec_b64 s[0:1], s[22:23]
	s_cbranch_execnz .LBB50_60
.LBB50_45:
	s_or_b64 exec, exec, s[0:1]
	s_and_saveexec_b64 s[0:1], s[24:25]
	s_cbranch_execnz .LBB50_61
.LBB50_46:
	s_or_b64 exec, exec, s[0:1]
	s_and_saveexec_b64 s[0:1], s[26:27]
	s_cbranch_execnz .LBB50_62
.LBB50_47:
	s_or_b64 exec, exec, s[0:1]
	s_and_saveexec_b64 s[0:1], s[28:29]
	s_cbranch_execnz .LBB50_63
.LBB50_48:
	s_or_b64 exec, exec, s[0:1]
	s_and_saveexec_b64 s[0:1], s[30:31]
	s_cbranch_execnz .LBB50_64
.LBB50_49:
	s_endpgm
.LBB50_50:
	ds_read_b64 v[30:31], v34
	s_waitcnt lgkmcnt(0)
	global_store_dwordx2 v[26:27], v[30:31], off
	s_or_b64 exec, exec, s[0:1]
	s_and_saveexec_b64 s[0:1], s[4:5]
	s_cbranch_execz .LBB50_36
.LBB50_51:
	global_store_dwordx2 v[26:27], v[20:21], off offset:2048
	s_or_b64 exec, exec, s[0:1]
	s_and_saveexec_b64 s[0:1], s[6:7]
	s_cbranch_execz .LBB50_37
.LBB50_52:
	v_add_co_u32_e32 v20, vcc, 0x1000, v26
	s_nop 1
	v_addc_co_u32_e32 v21, vcc, 0, v27, vcc
	global_store_dwordx2 v[20:21], v[22:23], off
	s_or_b64 exec, exec, s[0:1]
	s_and_saveexec_b64 s[0:1], s[8:9]
	s_cbranch_execz .LBB50_38
.LBB50_53:
	v_add_co_u32_e32 v20, vcc, 0x1000, v26
	s_nop 1
	v_addc_co_u32_e32 v21, vcc, 0, v27, vcc
	global_store_dwordx2 v[20:21], v[16:17], off offset:2048
	s_or_b64 exec, exec, s[0:1]
	s_and_saveexec_b64 s[0:1], s[10:11]
	s_cbranch_execz .LBB50_39
.LBB50_54:
	v_add_co_u32_e32 v16, vcc, 0x2000, v26
	s_nop 1
	v_addc_co_u32_e32 v17, vcc, 0, v27, vcc
	global_store_dwordx2 v[16:17], v[8:9], off
	s_or_b64 exec, exec, s[0:1]
	s_and_saveexec_b64 s[0:1], s[12:13]
	s_cbranch_execz .LBB50_40
.LBB50_55:
	v_add_co_u32_e32 v8, vcc, 0x2000, v26
	s_nop 1
	v_addc_co_u32_e32 v9, vcc, 0, v27, vcc
	global_store_dwordx2 v[8:9], v[18:19], off offset:2048
	s_or_b64 exec, exec, s[0:1]
	s_and_saveexec_b64 s[0:1], s[14:15]
	s_cbranch_execz .LBB50_41
.LBB50_56:
	v_add_co_u32_e32 v8, vcc, 0x3000, v26
	s_nop 1
	v_addc_co_u32_e32 v9, vcc, 0, v27, vcc
	global_store_dwordx2 v[8:9], v[12:13], off
	s_or_b64 exec, exec, s[0:1]
	s_and_saveexec_b64 s[0:1], s[16:17]
	s_cbranch_execz .LBB50_42
.LBB50_57:
	v_add_co_u32_e32 v8, vcc, 0x3000, v26
	s_nop 1
	v_addc_co_u32_e32 v9, vcc, 0, v27, vcc
	global_store_dwordx2 v[8:9], v[14:15], off offset:2048
	s_or_b64 exec, exec, s[0:1]
	s_and_saveexec_b64 s[0:1], s[18:19]
	s_cbranch_execz .LBB50_43
.LBB50_58:
	v_add_co_u32_e32 v8, vcc, 0x4000, v26
	s_nop 1
	v_addc_co_u32_e32 v9, vcc, 0, v27, vcc
	global_store_dwordx2 v[8:9], v[10:11], off
	s_or_b64 exec, exec, s[0:1]
	s_and_saveexec_b64 s[0:1], s[20:21]
	s_cbranch_execz .LBB50_44
.LBB50_59:
	v_add_co_u32_e32 v8, vcc, 0x4000, v26
	s_nop 1
	v_addc_co_u32_e32 v9, vcc, 0, v27, vcc
	global_store_dwordx2 v[8:9], v[4:5], off offset:2048
	s_or_b64 exec, exec, s[0:1]
	s_and_saveexec_b64 s[0:1], s[22:23]
	s_cbranch_execz .LBB50_45
.LBB50_60:
	v_add_co_u32_e32 v4, vcc, 0x5000, v26
	s_nop 1
	v_addc_co_u32_e32 v5, vcc, 0, v27, vcc
	global_store_dwordx2 v[4:5], v[6:7], off
	s_or_b64 exec, exec, s[0:1]
	s_and_saveexec_b64 s[0:1], s[24:25]
	s_cbranch_execz .LBB50_46
.LBB50_61:
	v_add_co_u32_e32 v4, vcc, 0x5000, v26
	s_nop 1
	v_addc_co_u32_e32 v5, vcc, 0, v27, vcc
	global_store_dwordx2 v[4:5], v[0:1], off offset:2048
	s_or_b64 exec, exec, s[0:1]
	s_and_saveexec_b64 s[0:1], s[26:27]
	s_cbranch_execz .LBB50_47
.LBB50_62:
	v_add_co_u32_e32 v0, vcc, 0x6000, v26
	s_nop 1
	v_addc_co_u32_e32 v1, vcc, 0, v27, vcc
	global_store_dwordx2 v[0:1], v[28:29], off
	s_or_b64 exec, exec, s[0:1]
	s_and_saveexec_b64 s[0:1], s[28:29]
	s_cbranch_execz .LBB50_48
.LBB50_63:
	v_add_co_u32_e32 v0, vcc, 0x6000, v26
	s_nop 1
	v_addc_co_u32_e32 v1, vcc, 0, v27, vcc
	global_store_dwordx2 v[0:1], v[2:3], off offset:2048
	s_or_b64 exec, exec, s[0:1]
	s_and_saveexec_b64 s[0:1], s[30:31]
	s_cbranch_execz .LBB50_49
.LBB50_64:
	v_add_co_u32_e32 v0, vcc, 0x7000, v26
	s_nop 1
	v_addc_co_u32_e32 v1, vcc, 0, v27, vcc
	global_store_dwordx2 v[0:1], v[24:25], off
	s_endpgm
	.section	.rodata,"a",@progbits
	.p2align	6, 0x0
	.amdhsa_kernel _ZN7rocprim17ROCPRIM_304000_NS6detail18single_scan_kernelILb0ENS1_19wrapped_scan_configINS0_14default_configEdEEPKdPdSt10multipliesIdEddEEvT1_mT4_T2_T3_
		.amdhsa_group_segment_fixed_size 30720
		.amdhsa_private_segment_fixed_size 0
		.amdhsa_kernarg_size 36
		.amdhsa_user_sgpr_count 2
		.amdhsa_user_sgpr_dispatch_ptr 0
		.amdhsa_user_sgpr_queue_ptr 0
		.amdhsa_user_sgpr_kernarg_segment_ptr 1
		.amdhsa_user_sgpr_dispatch_id 0
		.amdhsa_user_sgpr_kernarg_preload_length 0
		.amdhsa_user_sgpr_kernarg_preload_offset 0
		.amdhsa_user_sgpr_private_segment_size 0
		.amdhsa_uses_dynamic_stack 0
		.amdhsa_enable_private_segment 0
		.amdhsa_system_sgpr_workgroup_id_x 1
		.amdhsa_system_sgpr_workgroup_id_y 0
		.amdhsa_system_sgpr_workgroup_id_z 0
		.amdhsa_system_sgpr_workgroup_info 0
		.amdhsa_system_vgpr_workitem_id 0
		.amdhsa_next_free_vgpr 50
		.amdhsa_next_free_sgpr 68
		.amdhsa_accum_offset 52
		.amdhsa_reserve_vcc 1
		.amdhsa_float_round_mode_32 0
		.amdhsa_float_round_mode_16_64 0
		.amdhsa_float_denorm_mode_32 3
		.amdhsa_float_denorm_mode_16_64 3
		.amdhsa_dx10_clamp 1
		.amdhsa_ieee_mode 1
		.amdhsa_fp16_overflow 0
		.amdhsa_tg_split 0
		.amdhsa_exception_fp_ieee_invalid_op 0
		.amdhsa_exception_fp_denorm_src 0
		.amdhsa_exception_fp_ieee_div_zero 0
		.amdhsa_exception_fp_ieee_overflow 0
		.amdhsa_exception_fp_ieee_underflow 0
		.amdhsa_exception_fp_ieee_inexact 0
		.amdhsa_exception_int_div_zero 0
	.end_amdhsa_kernel
	.section	.text._ZN7rocprim17ROCPRIM_304000_NS6detail18single_scan_kernelILb0ENS1_19wrapped_scan_configINS0_14default_configEdEEPKdPdSt10multipliesIdEddEEvT1_mT4_T2_T3_,"axG",@progbits,_ZN7rocprim17ROCPRIM_304000_NS6detail18single_scan_kernelILb0ENS1_19wrapped_scan_configINS0_14default_configEdEEPKdPdSt10multipliesIdEddEEvT1_mT4_T2_T3_,comdat
.Lfunc_end50:
	.size	_ZN7rocprim17ROCPRIM_304000_NS6detail18single_scan_kernelILb0ENS1_19wrapped_scan_configINS0_14default_configEdEEPKdPdSt10multipliesIdEddEEvT1_mT4_T2_T3_, .Lfunc_end50-_ZN7rocprim17ROCPRIM_304000_NS6detail18single_scan_kernelILb0ENS1_19wrapped_scan_configINS0_14default_configEdEEPKdPdSt10multipliesIdEddEEvT1_mT4_T2_T3_
                                        ; -- End function
	.section	.AMDGPU.csdata,"",@progbits
; Kernel info:
; codeLenInByte = 2884
; NumSgprs: 74
; NumVgprs: 50
; NumAgprs: 0
; TotalNumVgprs: 50
; ScratchSize: 0
; MemoryBound: 1
; FloatMode: 240
; IeeeMode: 1
; LDSByteSize: 30720 bytes/workgroup (compile time only)
; SGPRBlocks: 9
; VGPRBlocks: 6
; NumSGPRsForWavesPerEU: 74
; NumVGPRsForWavesPerEU: 50
; AccumOffset: 52
; Occupancy: 2
; WaveLimiterHint : 0
; COMPUTE_PGM_RSRC2:SCRATCH_EN: 0
; COMPUTE_PGM_RSRC2:USER_SGPR: 2
; COMPUTE_PGM_RSRC2:TRAP_HANDLER: 0
; COMPUTE_PGM_RSRC2:TGID_X_EN: 1
; COMPUTE_PGM_RSRC2:TGID_Y_EN: 0
; COMPUTE_PGM_RSRC2:TGID_Z_EN: 0
; COMPUTE_PGM_RSRC2:TIDIG_COMP_CNT: 0
; COMPUTE_PGM_RSRC3_GFX90A:ACCUM_OFFSET: 12
; COMPUTE_PGM_RSRC3_GFX90A:TG_SPLIT: 0
	.section	.text._ZN2at6native32tensor_kernel_scan_innermost_dimIdSt10multipliesIdEEEvPT_PKS4_jjjS4_T0_,"axG",@progbits,_ZN2at6native32tensor_kernel_scan_innermost_dimIdSt10multipliesIdEEEvPT_PKS4_jjjS4_T0_,comdat
	.protected	_ZN2at6native32tensor_kernel_scan_innermost_dimIdSt10multipliesIdEEEvPT_PKS4_jjjS4_T0_ ; -- Begin function _ZN2at6native32tensor_kernel_scan_innermost_dimIdSt10multipliesIdEEEvPT_PKS4_jjjS4_T0_
	.globl	_ZN2at6native32tensor_kernel_scan_innermost_dimIdSt10multipliesIdEEEvPT_PKS4_jjjS4_T0_
	.p2align	8
	.type	_ZN2at6native32tensor_kernel_scan_innermost_dimIdSt10multipliesIdEEEvPT_PKS4_jjjS4_T0_,@function
_ZN2at6native32tensor_kernel_scan_innermost_dimIdSt10multipliesIdEEEvPT_PKS4_jjjS4_T0_: ; @_ZN2at6native32tensor_kernel_scan_innermost_dimIdSt10multipliesIdEEEvPT_PKS4_jjjS4_T0_
; %bb.0:
	s_load_dwordx8 s[12:19], s[0:1], 0x0
	s_load_dwordx2 s[20:21], s[0:1], 0x20
	v_bfe_u32 v2, v0, 10, 10
	s_waitcnt lgkmcnt(0)
	s_lshl_b32 s3, 2, s18
	v_mul_lo_u32 v1, s3, v2
	s_mul_hi_u32 s4, s16, s17
	s_mov_b32 s22, s16
	v_lshl_add_u32 v18, v1, 3, 0
	s_cmp_lg_u32 s4, 0
	s_mov_b64 s[4:5], -1
	s_cbranch_scc1 .LBB51_26
; %bb.1:
	s_load_dword s6, s[0:1], 0x3c
	s_add_u32 s4, s0, 48
	s_addc_u32 s5, s1, 0
	s_waitcnt lgkmcnt(0)
	s_lshr_b32 s6, s6, 16
	s_mul_i32 s19, s2, s6
	s_cmp_ge_u32 s19, s16
	s_cbranch_scc1 .LBB51_25
; %bb.2:
	s_load_dword s28, s[4:5], 0x0
	s_lshl_b32 s23, 1, s18
	s_cmp_lg_u32 s17, 0
	v_and_b32_e32 v1, 0x3ff, v0
	s_cselect_b64 s[4:5], -1, 0
	v_lshl_add_u32 v3, v1, 3, v18
	v_add_u32_e32 v17, -8, v18
	v_cndmask_b32_e64 v4, 0, 1, s[4:5]
	v_lshl_add_u32 v16, s23, 3, v3
	v_cmp_eq_u32_e64 s[8:9], 0, v1
	v_lshl_add_u32 v19, s3, 3, v17
	s_waitcnt lgkmcnt(0)
	s_mul_i32 s28, s28, s6
	s_add_i32 s29, s18, 1
	v_cmp_ne_u32_e64 s[4:5], 1, v4
	v_mov_b32_e32 v5, 0
	s_branch .LBB51_4
.LBB51_3:                               ;   in Loop: Header=BB51_4 Depth=1
	s_add_i32 s19, s19, s28
	s_cmp_ge_u32 s19, s16
	s_cbranch_scc1 .LBB51_25
.LBB51_4:                               ; =>This Loop Header: Depth=1
                                        ;     Child Loop BB51_7 Depth 2
                                        ;       Child Loop BB51_16 Depth 3
	s_and_b64 vcc, exec, s[4:5]
	s_cbranch_vccnz .LBB51_3
; %bb.5:                                ;   in Loop: Header=BB51_4 Depth=1
	v_add_u32_e32 v10, s19, v2
	v_mul_lo_u32 v4, v10, s17
	v_lshlrev_b64 v[8:9], 3, v[4:5]
	v_lshl_add_u64 v[6:7], s[14:15], 0, v[8:9]
	v_lshl_add_u64 v[8:9], s[12:13], 0, v[8:9]
	v_cmp_gt_u32_e32 vcc, s16, v10
	v_cmp_le_u32_e64 s[6:7], s16, v10
	s_mov_b32 s30, 0
	v_mov_b64_e32 v[12:13], s[20:21]
	s_branch .LBB51_7
.LBB51_6:                               ;   in Loop: Header=BB51_7 Depth=2
	s_or_b64 exec, exec, s[24:25]
	ds_read_b64 v[12:13], v19
	s_add_i32 s30, s30, s3
	s_cmp_ge_u32 s30, s17
	s_waitcnt lgkmcnt(0)
	s_barrier
	s_cbranch_scc1 .LBB51_3
.LBB51_7:                               ;   Parent Loop BB51_4 Depth=1
                                        ; =>  This Loop Header: Depth=2
                                        ;       Child Loop BB51_16 Depth 3
	v_add_u32_e32 v4, s30, v1
	v_add_u32_e32 v10, s23, v4
	s_and_saveexec_b64 s[24:25], vcc
	s_cbranch_execz .LBB51_14
; %bb.8:                                ;   in Loop: Header=BB51_7 Depth=2
	v_cmp_gt_u32_e64 s[10:11], s17, v4
	v_mov_b64_e32 v[14:15], s[20:21]
	s_and_saveexec_b64 s[26:27], s[10:11]
	s_cbranch_execz .LBB51_10
; %bb.9:                                ;   in Loop: Header=BB51_7 Depth=2
	v_lshl_add_u64 v[14:15], v[4:5], 3, v[6:7]
	global_load_dwordx2 v[14:15], v[14:15], off
.LBB51_10:                              ;   in Loop: Header=BB51_7 Depth=2
	s_or_b64 exec, exec, s[26:27]
	s_waitcnt vmcnt(0)
	ds_write_b64 v3, v[14:15]
	v_cmp_gt_u32_e64 s[10:11], s17, v10
	v_mov_b64_e32 v[14:15], s[20:21]
	s_and_saveexec_b64 s[26:27], s[10:11]
	s_cbranch_execz .LBB51_12
; %bb.11:                               ;   in Loop: Header=BB51_7 Depth=2
	v_mov_b32_e32 v11, v5
	v_lshl_add_u64 v[14:15], v[10:11], 3, v[6:7]
	global_load_dwordx2 v[14:15], v[14:15], off
.LBB51_12:                              ;   in Loop: Header=BB51_7 Depth=2
	s_or_b64 exec, exec, s[26:27]
	s_waitcnt vmcnt(0)
	ds_write_b64 v16, v[14:15]
	s_and_b64 exec, exec, s[8:9]
	s_cbranch_execz .LBB51_14
; %bb.13:                               ;   in Loop: Header=BB51_7 Depth=2
	ds_read_b64 v[14:15], v18
	s_waitcnt lgkmcnt(0)
	v_mul_f64 v[12:13], v[12:13], v[14:15]
	ds_write_b64 v18, v[12:13]
.LBB51_14:                              ;   in Loop: Header=BB51_7 Depth=2
	s_or_b64 exec, exec, s[24:25]
	s_mov_b64 s[24:25], 0
	v_mov_b32_e32 v11, 0
	s_waitcnt lgkmcnt(0)
	s_barrier
	s_branch .LBB51_16
.LBB51_15:                              ;   in Loop: Header=BB51_16 Depth=3
	s_or_b64 exec, exec, s[10:11]
	v_cmp_eq_u32_e64 s[10:11], s29, v11
	s_or_b64 s[24:25], s[10:11], s[24:25]
	s_waitcnt lgkmcnt(0)
	s_barrier
	s_andn2_b64 exec, exec, s[24:25]
	s_cbranch_execz .LBB51_20
.LBB51_16:                              ;   Parent Loop BB51_4 Depth=1
                                        ;     Parent Loop BB51_7 Depth=2
                                        ; =>    This Inner Loop Header: Depth=3
	v_add_u32_e32 v12, 1, v11
	s_and_saveexec_b64 s[10:11], s[6:7]
	s_xor_b64 s[10:11], exec, s[10:11]
; %bb.17:                               ;   in Loop: Header=BB51_16 Depth=3
	v_add_u32_e32 v11, 1, v11
                                        ; implicit-def: $vgpr12
; %bb.18:                               ;   in Loop: Header=BB51_16 Depth=3
	s_andn2_saveexec_b64 s[10:11], s[10:11]
	s_cbranch_execz .LBB51_15
; %bb.19:                               ;   in Loop: Header=BB51_16 Depth=3
	v_lshlrev_b32_e64 v13, v11, 1
	v_lshrrev_b32_e32 v14, v11, v1
	v_bfm_b32 v11, v11, 0
	v_lshl_or_b32 v13, v14, v12, v13
	v_and_b32_e32 v11, v11, v1
	v_lshlrev_b32_e32 v13, 3, v13
	v_lshlrev_b32_e32 v11, 3, v11
	v_add3_u32 v11, v18, v13, v11
	v_add_u32_e32 v13, v17, v13
	ds_read_b64 v[14:15], v11
	ds_read_b64 v[20:21], v13
	s_waitcnt lgkmcnt(0)
	v_mul_f64 v[14:15], v[14:15], v[20:21]
	ds_write_b64 v11, v[14:15]
	v_mov_b32_e32 v11, v12
	s_branch .LBB51_15
.LBB51_20:                              ;   in Loop: Header=BB51_7 Depth=2
	s_or_b64 exec, exec, s[24:25]
	s_and_saveexec_b64 s[24:25], vcc
	s_cbranch_execz .LBB51_6
; %bb.21:                               ;   in Loop: Header=BB51_7 Depth=2
	v_cmp_gt_u32_e64 s[10:11], s17, v4
	s_and_saveexec_b64 s[26:27], s[10:11]
	s_cbranch_execz .LBB51_23
; %bb.22:                               ;   in Loop: Header=BB51_7 Depth=2
	ds_read_b64 v[12:13], v3
	v_lshl_add_u64 v[14:15], v[4:5], 3, v[8:9]
	s_waitcnt lgkmcnt(0)
	global_store_dwordx2 v[14:15], v[12:13], off
.LBB51_23:                              ;   in Loop: Header=BB51_7 Depth=2
	s_or_b64 exec, exec, s[26:27]
	v_cmp_gt_u32_e64 s[10:11], s17, v10
	s_and_b64 exec, exec, s[10:11]
	s_cbranch_execz .LBB51_6
; %bb.24:                               ;   in Loop: Header=BB51_7 Depth=2
	ds_read_b64 v[12:13], v16
	v_mov_b32_e32 v11, v5
	v_lshl_add_u64 v[10:11], v[10:11], 3, v[8:9]
	s_waitcnt lgkmcnt(0)
	global_store_dwordx2 v[10:11], v[12:13], off
	s_branch .LBB51_6
.LBB51_25:
	s_mov_b64 s[4:5], 0
.LBB51_26:
	s_andn2_b64 vcc, exec, s[4:5]
	s_cbranch_vccnz .LBB51_53
; %bb.27:
	s_load_dword s3, s[0:1], 0x3c
	s_add_u32 s4, s0, 48
	s_mov_b32 s23, 0
	s_addc_u32 s5, s1, 0
	v_mov_b64_e32 v[4:5], s[22:23]
	s_waitcnt lgkmcnt(0)
	s_lshr_b32 s0, s3, 16
	s_mul_hi_u32 s9, s0, s2
	s_mul_i32 s8, s0, s2
	v_cmp_ge_u64_e32 vcc, s[8:9], v[4:5]
	s_cbranch_vccnz .LBB51_53
; %bb.28:
	s_lshl_b32 s10, 1, s18
	s_load_dword s4, s[4:5], 0x0
	s_and_b32 s6, 0xffff, s0
	s_ashr_i32 s11, s10, 31
	s_cmp_lg_u32 s17, 0
	s_mov_b32 s24, s17
	v_and_b32_e32 v0, 0x3ff, v0
	s_cselect_b64 s[2:3], -1, 0
	s_lshl_b64 s[16:17], s[10:11], 1
	v_mov_b32_e32 v3, 0
	v_lshl_add_u32 v19, v0, 3, v18
	s_lshl_b32 s5, s16, 3
	v_cndmask_b32_e64 v4, 0, 1, s[2:3]
	s_mov_b32 s25, s23
	v_mov_b32_e32 v1, v3
	v_lshl_add_u32 v20, s10, 3, v19
	v_cmp_eq_u32_e64 s[0:1], 0, v0
	v_add3_u32 v21, v18, s5, -8
	s_waitcnt lgkmcnt(0)
	s_mul_i32 s33, s4, s6
	s_add_i32 s34, s18, 1
	v_cmp_ne_u32_e64 s[2:3], 1, v4
	v_mov_b64_e32 v[4:5], s[22:23]
	s_branch .LBB51_30
.LBB51_29:                              ;   in Loop: Header=BB51_30 Depth=1
	s_add_u32 s8, s8, s33
	s_addc_u32 s9, s9, 0
	v_cmp_ge_u64_e32 vcc, s[8:9], v[4:5]
	s_cbranch_vccnz .LBB51_53
.LBB51_30:                              ; =>This Loop Header: Depth=1
                                        ;     Child Loop BB51_33 Depth 2
                                        ;       Child Loop BB51_43 Depth 3
	s_and_b64 vcc, exec, s[2:3]
	s_cbranch_vccnz .LBB51_29
; %bb.31:                               ;   in Loop: Header=BB51_30 Depth=1
	v_lshl_add_u64 v[10:11], s[8:9], 0, v[2:3]
	v_mad_u64_u32 v[6:7], s[4:5], v10, s24, 0
	v_mov_b32_e32 v8, v7
	v_mad_u64_u32 v[8:9], s[4:5], v11, s24, v[8:9]
	v_mov_b32_e32 v7, v8
	v_lshlrev_b64 v[8:9], 3, v[6:7]
	v_lshl_add_u64 v[6:7], s[14:15], 0, v[8:9]
	v_lshl_add_u64 v[8:9], s[12:13], 0, v[8:9]
	v_cmp_gt_u64_e64 s[4:5], s[22:23], v[10:11]
	v_cmp_le_u64_e64 s[6:7], s[22:23], v[10:11]
	s_mov_b64 s[18:19], 0
	v_mov_b64_e32 v[14:15], s[20:21]
	s_branch .LBB51_33
.LBB51_32:                              ;   in Loop: Header=BB51_33 Depth=2
	s_or_b64 exec, exec, s[26:27]
	ds_read_b64 v[14:15], v21
	s_add_u32 s18, s18, s16
	s_addc_u32 s19, s19, s17
	v_mov_b64_e32 v[10:11], s[24:25]
	v_cmp_ge_u64_e32 vcc, s[18:19], v[10:11]
	s_waitcnt lgkmcnt(0)
	s_barrier
	s_cbranch_vccnz .LBB51_29
.LBB51_33:                              ;   Parent Loop BB51_30 Depth=1
                                        ; =>  This Loop Header: Depth=2
                                        ;       Child Loop BB51_43 Depth 3
	v_lshl_add_u64 v[12:13], s[18:19], 0, v[0:1]
	v_lshl_add_u64 v[10:11], v[12:13], 0, s[10:11]
	s_and_saveexec_b64 s[26:27], s[4:5]
	s_cbranch_execz .LBB51_40
; %bb.34:                               ;   in Loop: Header=BB51_33 Depth=2
	v_cmp_gt_u64_e32 vcc, s[24:25], v[12:13]
	v_mov_b64_e32 v[16:17], s[20:21]
	s_and_saveexec_b64 s[28:29], vcc
	s_cbranch_execz .LBB51_36
; %bb.35:                               ;   in Loop: Header=BB51_33 Depth=2
	v_lshl_add_u64 v[16:17], v[12:13], 3, v[6:7]
	global_load_dwordx2 v[16:17], v[16:17], off
.LBB51_36:                              ;   in Loop: Header=BB51_33 Depth=2
	s_or_b64 exec, exec, s[28:29]
	s_waitcnt vmcnt(0)
	ds_write_b64 v19, v[16:17]
	v_cmp_gt_u64_e32 vcc, s[24:25], v[10:11]
	v_mov_b64_e32 v[16:17], s[20:21]
	s_and_saveexec_b64 s[28:29], vcc
	s_cbranch_execz .LBB51_38
; %bb.37:                               ;   in Loop: Header=BB51_33 Depth=2
	v_lshl_add_u64 v[16:17], v[10:11], 3, v[6:7]
	global_load_dwordx2 v[16:17], v[16:17], off
.LBB51_38:                              ;   in Loop: Header=BB51_33 Depth=2
	s_or_b64 exec, exec, s[28:29]
	s_waitcnt vmcnt(0)
	ds_write_b64 v20, v[16:17]
	s_and_b64 exec, exec, s[0:1]
	s_cbranch_execz .LBB51_40
; %bb.39:                               ;   in Loop: Header=BB51_33 Depth=2
	ds_read_b64 v[16:17], v18
	s_waitcnt lgkmcnt(0)
	v_mul_f64 v[14:15], v[14:15], v[16:17]
	ds_write_b64 v18, v[14:15]
.LBB51_40:                              ;   in Loop: Header=BB51_33 Depth=2
	s_or_b64 exec, exec, s[26:27]
	s_mov_b64 s[26:27], 0
	v_mov_b32_e32 v23, 0
	s_waitcnt lgkmcnt(0)
	s_barrier
	s_branch .LBB51_43
.LBB51_41:                              ;   in Loop: Header=BB51_43 Depth=3
	s_or_b64 exec, exec, s[30:31]
	v_lshrrev_b32_e32 v15, v23, v0
	v_lshl_or_b32 v14, v15, v22, v14
	v_lshl_add_u32 v14, v14, 3, v18
	v_lshl_add_u32 v23, v16, 3, v14
	v_add_u32_e32 v16, -8, v14
	ds_read_b64 v[14:15], v23
	ds_read_b64 v[16:17], v16
	s_waitcnt lgkmcnt(0)
	v_mul_f64 v[14:15], v[14:15], v[16:17]
	ds_write_b64 v23, v[14:15]
.LBB51_42:                              ;   in Loop: Header=BB51_43 Depth=3
	s_or_b64 exec, exec, s[28:29]
	v_cmp_eq_u32_e32 vcc, s34, v22
	s_or_b64 s[26:27], vcc, s[26:27]
	v_mov_b32_e32 v23, v22
	s_waitcnt lgkmcnt(0)
	s_barrier
	s_andn2_b64 exec, exec, s[26:27]
	s_cbranch_execz .LBB51_48
.LBB51_43:                              ;   Parent Loop BB51_30 Depth=1
                                        ;     Parent Loop BB51_33 Depth=2
                                        ; =>    This Inner Loop Header: Depth=3
	v_add_u32_e32 v22, 1, v23
	s_and_saveexec_b64 s[28:29], s[6:7]
	s_xor_b64 s[28:29], exec, s[28:29]
; %bb.44:                               ;   in Loop: Header=BB51_43 Depth=3
	v_add_u32_e32 v22, 1, v23
                                        ; implicit-def: $vgpr23
; %bb.45:                               ;   in Loop: Header=BB51_43 Depth=3
	s_andn2_saveexec_b64 s[28:29], s[28:29]
	s_cbranch_execz .LBB51_42
; %bb.46:                               ;   in Loop: Header=BB51_43 Depth=3
	v_lshlrev_b32_e64 v14, v23, 1
	v_ashrrev_i32_e32 v15, 31, v14
	v_cmp_ge_u64_e32 vcc, v[0:1], v[14:15]
	v_mov_b64_e32 v[16:17], v[0:1]
	s_and_saveexec_b64 s[30:31], vcc
	s_cbranch_execz .LBB51_41
; %bb.47:                               ;   in Loop: Header=BB51_43 Depth=3
	v_cvt_f32_u32_e32 v15, v14
	v_sub_u32_e32 v16, 0, v14
	v_rcp_iflag_f32_e32 v15, v15
	s_nop 0
	v_mul_f32_e32 v15, 0x4f7ffffe, v15
	v_cvt_u32_f32_e32 v15, v15
	v_mul_lo_u32 v16, v16, v15
	v_mul_hi_u32 v16, v15, v16
	v_add_u32_e32 v15, v15, v16
	v_mul_hi_u32 v15, v0, v15
	v_mul_lo_u32 v15, v15, v14
	v_sub_u32_e32 v15, v0, v15
	v_sub_u32_e32 v16, v15, v14
	v_cmp_ge_u32_e32 vcc, v15, v14
	s_nop 1
	v_cndmask_b32_e32 v15, v15, v16, vcc
	v_sub_u32_e32 v16, v15, v14
	v_cmp_ge_u32_e32 vcc, v15, v14
	s_nop 1
	v_cndmask_b32_e32 v16, v15, v16, vcc
	s_branch .LBB51_41
.LBB51_48:                              ;   in Loop: Header=BB51_33 Depth=2
	s_or_b64 exec, exec, s[26:27]
	s_and_saveexec_b64 s[26:27], s[4:5]
	s_cbranch_execz .LBB51_32
; %bb.49:                               ;   in Loop: Header=BB51_33 Depth=2
	v_cmp_gt_u64_e32 vcc, s[24:25], v[12:13]
	s_and_saveexec_b64 s[28:29], vcc
	s_cbranch_execz .LBB51_51
; %bb.50:                               ;   in Loop: Header=BB51_33 Depth=2
	ds_read_b64 v[14:15], v19
	v_lshl_add_u64 v[12:13], v[12:13], 3, v[8:9]
	s_waitcnt lgkmcnt(0)
	global_store_dwordx2 v[12:13], v[14:15], off
.LBB51_51:                              ;   in Loop: Header=BB51_33 Depth=2
	s_or_b64 exec, exec, s[28:29]
	v_cmp_gt_u64_e32 vcc, s[24:25], v[10:11]
	s_and_b64 exec, exec, vcc
	s_cbranch_execz .LBB51_32
; %bb.52:                               ;   in Loop: Header=BB51_33 Depth=2
	ds_read_b64 v[12:13], v20
	v_lshl_add_u64 v[10:11], v[10:11], 3, v[8:9]
	s_waitcnt lgkmcnt(0)
	global_store_dwordx2 v[10:11], v[12:13], off
	s_branch .LBB51_32
.LBB51_53:
	s_endpgm
	.section	.rodata,"a",@progbits
	.p2align	6, 0x0
	.amdhsa_kernel _ZN2at6native32tensor_kernel_scan_innermost_dimIdSt10multipliesIdEEEvPT_PKS4_jjjS4_T0_
		.amdhsa_group_segment_fixed_size 0
		.amdhsa_private_segment_fixed_size 0
		.amdhsa_kernarg_size 304
		.amdhsa_user_sgpr_count 2
		.amdhsa_user_sgpr_dispatch_ptr 0
		.amdhsa_user_sgpr_queue_ptr 0
		.amdhsa_user_sgpr_kernarg_segment_ptr 1
		.amdhsa_user_sgpr_dispatch_id 0
		.amdhsa_user_sgpr_kernarg_preload_length 0
		.amdhsa_user_sgpr_kernarg_preload_offset 0
		.amdhsa_user_sgpr_private_segment_size 0
		.amdhsa_uses_dynamic_stack 0
		.amdhsa_enable_private_segment 0
		.amdhsa_system_sgpr_workgroup_id_x 1
		.amdhsa_system_sgpr_workgroup_id_y 0
		.amdhsa_system_sgpr_workgroup_id_z 0
		.amdhsa_system_sgpr_workgroup_info 0
		.amdhsa_system_vgpr_workitem_id 1
		.amdhsa_next_free_vgpr 24
		.amdhsa_next_free_sgpr 35
		.amdhsa_accum_offset 24
		.amdhsa_reserve_vcc 1
		.amdhsa_float_round_mode_32 0
		.amdhsa_float_round_mode_16_64 0
		.amdhsa_float_denorm_mode_32 3
		.amdhsa_float_denorm_mode_16_64 3
		.amdhsa_dx10_clamp 1
		.amdhsa_ieee_mode 1
		.amdhsa_fp16_overflow 0
		.amdhsa_tg_split 0
		.amdhsa_exception_fp_ieee_invalid_op 0
		.amdhsa_exception_fp_denorm_src 0
		.amdhsa_exception_fp_ieee_div_zero 0
		.amdhsa_exception_fp_ieee_overflow 0
		.amdhsa_exception_fp_ieee_underflow 0
		.amdhsa_exception_fp_ieee_inexact 0
		.amdhsa_exception_int_div_zero 0
	.end_amdhsa_kernel
	.section	.text._ZN2at6native32tensor_kernel_scan_innermost_dimIdSt10multipliesIdEEEvPT_PKS4_jjjS4_T0_,"axG",@progbits,_ZN2at6native32tensor_kernel_scan_innermost_dimIdSt10multipliesIdEEEvPT_PKS4_jjjS4_T0_,comdat
.Lfunc_end51:
	.size	_ZN2at6native32tensor_kernel_scan_innermost_dimIdSt10multipliesIdEEEvPT_PKS4_jjjS4_T0_, .Lfunc_end51-_ZN2at6native32tensor_kernel_scan_innermost_dimIdSt10multipliesIdEEEvPT_PKS4_jjjS4_T0_
                                        ; -- End function
	.section	.AMDGPU.csdata,"",@progbits
; Kernel info:
; codeLenInByte = 1648
; NumSgprs: 41
; NumVgprs: 24
; NumAgprs: 0
; TotalNumVgprs: 24
; ScratchSize: 0
; MemoryBound: 0
; FloatMode: 240
; IeeeMode: 1
; LDSByteSize: 0 bytes/workgroup (compile time only)
; SGPRBlocks: 5
; VGPRBlocks: 2
; NumSGPRsForWavesPerEU: 41
; NumVGPRsForWavesPerEU: 24
; AccumOffset: 24
; Occupancy: 8
; WaveLimiterHint : 0
; COMPUTE_PGM_RSRC2:SCRATCH_EN: 0
; COMPUTE_PGM_RSRC2:USER_SGPR: 2
; COMPUTE_PGM_RSRC2:TRAP_HANDLER: 0
; COMPUTE_PGM_RSRC2:TGID_X_EN: 1
; COMPUTE_PGM_RSRC2:TGID_Y_EN: 0
; COMPUTE_PGM_RSRC2:TGID_Z_EN: 0
; COMPUTE_PGM_RSRC2:TIDIG_COMP_CNT: 1
; COMPUTE_PGM_RSRC3_GFX90A:ACCUM_OFFSET: 5
; COMPUTE_PGM_RSRC3_GFX90A:TG_SPLIT: 0
	.section	.text._ZN2at6native28tensor_kernel_scan_outer_dimIdjSt10multipliesIdEEEvPT_PKS4_jjjS4_T1_,"axG",@progbits,_ZN2at6native28tensor_kernel_scan_outer_dimIdjSt10multipliesIdEEEvPT_PKS4_jjjS4_T1_,comdat
	.protected	_ZN2at6native28tensor_kernel_scan_outer_dimIdjSt10multipliesIdEEEvPT_PKS4_jjjS4_T1_ ; -- Begin function _ZN2at6native28tensor_kernel_scan_outer_dimIdjSt10multipliesIdEEEvPT_PKS4_jjjS4_T1_
	.globl	_ZN2at6native28tensor_kernel_scan_outer_dimIdjSt10multipliesIdEEEvPT_PKS4_jjjS4_T1_
	.p2align	8
	.type	_ZN2at6native28tensor_kernel_scan_outer_dimIdjSt10multipliesIdEEEvPT_PKS4_jjjS4_T1_,@function
_ZN2at6native28tensor_kernel_scan_outer_dimIdjSt10multipliesIdEEEvPT_PKS4_jjjS4_T1_: ; @_ZN2at6native28tensor_kernel_scan_outer_dimIdjSt10multipliesIdEEEvPT_PKS4_jjjS4_T1_
; %bb.0:
	s_load_dwordx4 s[8:11], s[0:1], 0x10
	s_waitcnt lgkmcnt(0)
	s_cmp_ge_u32 s2, s8
	s_cbranch_scc1 .LBB52_9
; %bb.1:
	s_load_dword s11, s[0:1], 0x30
	s_load_dword s4, s[0:1], 0x3c
	s_load_dwordx4 s[12:15], s[0:1], 0x0
	s_load_dwordx2 s[6:7], s[0:1], 0x20
	s_add_u32 s16, s0, 48
	s_addc_u32 s17, s1, 0
	s_waitcnt lgkmcnt(0)
	s_and_b32 s28, s4, 0xffff
	s_mul_i32 s3, s3, s28
	s_cmp_lg_u32 s10, 0
	v_add_u32_e32 v6, s3, v0
	s_mul_i32 s3, s2, s10
	s_cselect_b64 s[4:5], -1, 0
	s_mov_b32 s19, 0
	s_mov_b32 s18, s9
	s_mul_i32 s22, s3, s9
	s_mul_i32 s3, s11, s10
	v_cndmask_b32_e64 v0, 0, 1, s[4:5]
	v_cmp_gt_u32_e64 s[0:1], s9, v6
	s_mul_i32 s3, s3, s9
	s_lshl_b64 s[20:21], s[18:19], 3
	v_cmp_ne_u32_e64 s[4:5], 1, v0
	v_mov_b32_e32 v1, 0
	s_mov_b32 s18, s22
	s_branch .LBB52_3
.LBB52_2:                               ;   in Loop: Header=BB52_3 Depth=1
	s_or_b64 exec, exec, s[22:23]
	s_add_i32 s2, s11, s2
	s_add_i32 s18, s18, s3
	s_cmp_ge_u32 s2, s8
	s_cbranch_scc1 .LBB52_9
.LBB52_3:                               ; =>This Loop Header: Depth=1
                                        ;     Child Loop BB52_6 Depth 2
                                        ;       Child Loop BB52_8 Depth 3
	s_and_saveexec_b64 s[22:23], s[0:1]
	s_cbranch_execz .LBB52_2
; %bb.4:                                ;   in Loop: Header=BB52_3 Depth=1
	s_load_dword s29, s[16:17], 0x4
	s_lshl_b64 s[24:25], s[18:19], 3
	s_mov_b64 s[26:27], 0
	v_mov_b32_e32 v0, v6
	s_waitcnt lgkmcnt(0)
	s_mul_i32 s29, s29, s28
	s_branch .LBB52_6
.LBB52_5:                               ;   in Loop: Header=BB52_6 Depth=2
	v_add_u32_e32 v0, s29, v0
	v_cmp_le_u32_e32 vcc, s9, v0
	s_or_b64 s[26:27], vcc, s[26:27]
	s_andn2_b64 exec, exec, s[26:27]
	s_cbranch_execz .LBB52_2
.LBB52_6:                               ;   Parent Loop BB52_3 Depth=1
                                        ; =>  This Loop Header: Depth=2
                                        ;       Child Loop BB52_8 Depth 3
	s_and_b64 vcc, exec, s[4:5]
	s_cbranch_vccnz .LBB52_5
; %bb.7:                                ;   in Loop: Header=BB52_6 Depth=2
	v_lshl_add_u64 v[2:3], v[0:1], 3, s[24:25]
	v_mov_b64_e32 v[4:5], s[6:7]
	s_mov_b32 s30, s10
.LBB52_8:                               ;   Parent Loop BB52_3 Depth=1
                                        ;     Parent Loop BB52_6 Depth=2
                                        ; =>    This Inner Loop Header: Depth=3
	v_lshl_add_u64 v[8:9], s[14:15], 0, v[2:3]
	global_load_dwordx2 v[8:9], v[8:9], off
	s_add_i32 s30, s30, -1
	v_lshl_add_u64 v[10:11], s[12:13], 0, v[2:3]
	v_lshl_add_u64 v[2:3], v[2:3], 0, s[20:21]
	s_cmp_eq_u32 s30, 0
	s_waitcnt vmcnt(0)
	v_mul_f64 v[4:5], v[4:5], v[8:9]
	global_store_dwordx2 v[10:11], v[4:5], off
	s_cbranch_scc0 .LBB52_8
	s_branch .LBB52_5
.LBB52_9:
	s_endpgm
	.section	.rodata,"a",@progbits
	.p2align	6, 0x0
	.amdhsa_kernel _ZN2at6native28tensor_kernel_scan_outer_dimIdjSt10multipliesIdEEEvPT_PKS4_jjjS4_T1_
		.amdhsa_group_segment_fixed_size 0
		.amdhsa_private_segment_fixed_size 0
		.amdhsa_kernarg_size 304
		.amdhsa_user_sgpr_count 2
		.amdhsa_user_sgpr_dispatch_ptr 0
		.amdhsa_user_sgpr_queue_ptr 0
		.amdhsa_user_sgpr_kernarg_segment_ptr 1
		.amdhsa_user_sgpr_dispatch_id 0
		.amdhsa_user_sgpr_kernarg_preload_length 0
		.amdhsa_user_sgpr_kernarg_preload_offset 0
		.amdhsa_user_sgpr_private_segment_size 0
		.amdhsa_uses_dynamic_stack 0
		.amdhsa_enable_private_segment 0
		.amdhsa_system_sgpr_workgroup_id_x 1
		.amdhsa_system_sgpr_workgroup_id_y 1
		.amdhsa_system_sgpr_workgroup_id_z 0
		.amdhsa_system_sgpr_workgroup_info 0
		.amdhsa_system_vgpr_workitem_id 0
		.amdhsa_next_free_vgpr 12
		.amdhsa_next_free_sgpr 31
		.amdhsa_accum_offset 12
		.amdhsa_reserve_vcc 1
		.amdhsa_float_round_mode_32 0
		.amdhsa_float_round_mode_16_64 0
		.amdhsa_float_denorm_mode_32 3
		.amdhsa_float_denorm_mode_16_64 3
		.amdhsa_dx10_clamp 1
		.amdhsa_ieee_mode 1
		.amdhsa_fp16_overflow 0
		.amdhsa_tg_split 0
		.amdhsa_exception_fp_ieee_invalid_op 0
		.amdhsa_exception_fp_denorm_src 0
		.amdhsa_exception_fp_ieee_div_zero 0
		.amdhsa_exception_fp_ieee_overflow 0
		.amdhsa_exception_fp_ieee_underflow 0
		.amdhsa_exception_fp_ieee_inexact 0
		.amdhsa_exception_int_div_zero 0
	.end_amdhsa_kernel
	.section	.text._ZN2at6native28tensor_kernel_scan_outer_dimIdjSt10multipliesIdEEEvPT_PKS4_jjjS4_T1_,"axG",@progbits,_ZN2at6native28tensor_kernel_scan_outer_dimIdjSt10multipliesIdEEEvPT_PKS4_jjjS4_T1_,comdat
.Lfunc_end52:
	.size	_ZN2at6native28tensor_kernel_scan_outer_dimIdjSt10multipliesIdEEEvPT_PKS4_jjjS4_T1_, .Lfunc_end52-_ZN2at6native28tensor_kernel_scan_outer_dimIdjSt10multipliesIdEEEvPT_PKS4_jjjS4_T1_
                                        ; -- End function
	.section	.AMDGPU.csdata,"",@progbits
; Kernel info:
; codeLenInByte = 328
; NumSgprs: 37
; NumVgprs: 12
; NumAgprs: 0
; TotalNumVgprs: 12
; ScratchSize: 0
; MemoryBound: 0
; FloatMode: 240
; IeeeMode: 1
; LDSByteSize: 0 bytes/workgroup (compile time only)
; SGPRBlocks: 4
; VGPRBlocks: 1
; NumSGPRsForWavesPerEU: 37
; NumVGPRsForWavesPerEU: 12
; AccumOffset: 12
; Occupancy: 8
; WaveLimiterHint : 0
; COMPUTE_PGM_RSRC2:SCRATCH_EN: 0
; COMPUTE_PGM_RSRC2:USER_SGPR: 2
; COMPUTE_PGM_RSRC2:TRAP_HANDLER: 0
; COMPUTE_PGM_RSRC2:TGID_X_EN: 1
; COMPUTE_PGM_RSRC2:TGID_Y_EN: 1
; COMPUTE_PGM_RSRC2:TGID_Z_EN: 0
; COMPUTE_PGM_RSRC2:TIDIG_COMP_CNT: 0
; COMPUTE_PGM_RSRC3_GFX90A:ACCUM_OFFSET: 2
; COMPUTE_PGM_RSRC3_GFX90A:TG_SPLIT: 0
	.section	.text._ZN2at6native28tensor_kernel_scan_outer_dimIdmSt10multipliesIdEEEvPT_PKS4_jjjS4_T1_,"axG",@progbits,_ZN2at6native28tensor_kernel_scan_outer_dimIdmSt10multipliesIdEEEvPT_PKS4_jjjS4_T1_,comdat
	.protected	_ZN2at6native28tensor_kernel_scan_outer_dimIdmSt10multipliesIdEEEvPT_PKS4_jjjS4_T1_ ; -- Begin function _ZN2at6native28tensor_kernel_scan_outer_dimIdmSt10multipliesIdEEEvPT_PKS4_jjjS4_T1_
	.globl	_ZN2at6native28tensor_kernel_scan_outer_dimIdmSt10multipliesIdEEEvPT_PKS4_jjjS4_T1_
	.p2align	8
	.type	_ZN2at6native28tensor_kernel_scan_outer_dimIdmSt10multipliesIdEEEvPT_PKS4_jjjS4_T1_,@function
_ZN2at6native28tensor_kernel_scan_outer_dimIdmSt10multipliesIdEEEvPT_PKS4_jjjS4_T1_: ; @_ZN2at6native28tensor_kernel_scan_outer_dimIdmSt10multipliesIdEEEvPT_PKS4_jjjS4_T1_
; %bb.0:
	s_load_dwordx4 s[8:11], s[0:1], 0x10
	s_waitcnt lgkmcnt(0)
	s_cmp_ge_u32 s2, s8
	s_cbranch_scc1 .LBB53_9
; %bb.1:
	s_load_dword s11, s[0:1], 0x30
	s_load_dword s4, s[0:1], 0x3c
	s_load_dwordx4 s[12:15], s[0:1], 0x0
	s_load_dwordx2 s[6:7], s[0:1], 0x20
	s_add_u32 s16, s0, 48
	s_addc_u32 s17, s1, 0
	s_waitcnt lgkmcnt(0)
	s_and_b32 s28, s4, 0xffff
	s_cmp_lg_u32 s10, 0
	s_mul_i32 s3, s3, s28
	s_cselect_b64 s[22:23], -1, 0
	v_add_u32_e32 v6, s3, v0
	s_mov_b32 s5, 0
	s_mov_b32 s4, s9
	s_mul_hi_u32 s19, s10, s9
	s_mul_i32 s18, s10, s9
	v_cndmask_b32_e64 v0, 0, 1, s[22:23]
	v_cmp_gt_u32_e64 s[0:1], s9, v6
	s_lshl_b64 s[18:19], s[18:19], 3
	s_lshl_b64 s[20:21], s[4:5], 3
	v_cmp_ne_u32_e64 s[4:5], 1, v0
	v_mov_b32_e32 v1, 0
	s_branch .LBB53_3
.LBB53_2:                               ;   in Loop: Header=BB53_3 Depth=1
	s_or_b64 exec, exec, s[22:23]
	s_add_i32 s2, s2, s11
	s_cmp_ge_u32 s2, s8
	s_cbranch_scc1 .LBB53_9
.LBB53_3:                               ; =>This Loop Header: Depth=1
                                        ;     Child Loop BB53_6 Depth 2
                                        ;       Child Loop BB53_8 Depth 3
	s_and_saveexec_b64 s[22:23], s[0:1]
	s_cbranch_execz .LBB53_2
; %bb.4:                                ;   in Loop: Header=BB53_3 Depth=1
	s_load_dword s3, s[16:17], 0x4
	s_mul_i32 s25, s19, s2
	s_mul_hi_u32 s26, s18, s2
	s_mul_i32 s24, s18, s2
	s_add_i32 s25, s26, s25
	s_waitcnt lgkmcnt(0)
	s_mul_i32 s3, s3, s28
	s_mov_b64 s[26:27], 0
	v_mov_b32_e32 v0, v6
	s_branch .LBB53_6
.LBB53_5:                               ;   in Loop: Header=BB53_6 Depth=2
	v_add_u32_e32 v0, s3, v0
	v_cmp_le_u32_e32 vcc, s9, v0
	s_or_b64 s[26:27], vcc, s[26:27]
	s_andn2_b64 exec, exec, s[26:27]
	s_cbranch_execz .LBB53_2
.LBB53_6:                               ;   Parent Loop BB53_3 Depth=1
                                        ; =>  This Loop Header: Depth=2
                                        ;       Child Loop BB53_8 Depth 3
	s_and_b64 vcc, exec, s[4:5]
	s_cbranch_vccnz .LBB53_5
; %bb.7:                                ;   in Loop: Header=BB53_6 Depth=2
	v_lshl_add_u64 v[2:3], v[0:1], 3, s[24:25]
	v_mov_b64_e32 v[4:5], s[6:7]
	s_mov_b32 s29, s10
.LBB53_8:                               ;   Parent Loop BB53_3 Depth=1
                                        ;     Parent Loop BB53_6 Depth=2
                                        ; =>    This Inner Loop Header: Depth=3
	v_lshl_add_u64 v[8:9], s[14:15], 0, v[2:3]
	global_load_dwordx2 v[8:9], v[8:9], off
	s_add_i32 s29, s29, -1
	v_lshl_add_u64 v[10:11], s[12:13], 0, v[2:3]
	v_lshl_add_u64 v[2:3], v[2:3], 0, s[20:21]
	s_cmp_eq_u32 s29, 0
	s_waitcnt vmcnt(0)
	v_mul_f64 v[4:5], v[4:5], v[8:9]
	global_store_dwordx2 v[10:11], v[4:5], off
	s_cbranch_scc0 .LBB53_8
	s_branch .LBB53_5
.LBB53_9:
	s_endpgm
	.section	.rodata,"a",@progbits
	.p2align	6, 0x0
	.amdhsa_kernel _ZN2at6native28tensor_kernel_scan_outer_dimIdmSt10multipliesIdEEEvPT_PKS4_jjjS4_T1_
		.amdhsa_group_segment_fixed_size 0
		.amdhsa_private_segment_fixed_size 0
		.amdhsa_kernarg_size 304
		.amdhsa_user_sgpr_count 2
		.amdhsa_user_sgpr_dispatch_ptr 0
		.amdhsa_user_sgpr_queue_ptr 0
		.amdhsa_user_sgpr_kernarg_segment_ptr 1
		.amdhsa_user_sgpr_dispatch_id 0
		.amdhsa_user_sgpr_kernarg_preload_length 0
		.amdhsa_user_sgpr_kernarg_preload_offset 0
		.amdhsa_user_sgpr_private_segment_size 0
		.amdhsa_uses_dynamic_stack 0
		.amdhsa_enable_private_segment 0
		.amdhsa_system_sgpr_workgroup_id_x 1
		.amdhsa_system_sgpr_workgroup_id_y 1
		.amdhsa_system_sgpr_workgroup_id_z 0
		.amdhsa_system_sgpr_workgroup_info 0
		.amdhsa_system_vgpr_workitem_id 0
		.amdhsa_next_free_vgpr 12
		.amdhsa_next_free_sgpr 30
		.amdhsa_accum_offset 12
		.amdhsa_reserve_vcc 1
		.amdhsa_float_round_mode_32 0
		.amdhsa_float_round_mode_16_64 0
		.amdhsa_float_denorm_mode_32 3
		.amdhsa_float_denorm_mode_16_64 3
		.amdhsa_dx10_clamp 1
		.amdhsa_ieee_mode 1
		.amdhsa_fp16_overflow 0
		.amdhsa_tg_split 0
		.amdhsa_exception_fp_ieee_invalid_op 0
		.amdhsa_exception_fp_denorm_src 0
		.amdhsa_exception_fp_ieee_div_zero 0
		.amdhsa_exception_fp_ieee_overflow 0
		.amdhsa_exception_fp_ieee_underflow 0
		.amdhsa_exception_fp_ieee_inexact 0
		.amdhsa_exception_int_div_zero 0
	.end_amdhsa_kernel
	.section	.text._ZN2at6native28tensor_kernel_scan_outer_dimIdmSt10multipliesIdEEEvPT_PKS4_jjjS4_T1_,"axG",@progbits,_ZN2at6native28tensor_kernel_scan_outer_dimIdmSt10multipliesIdEEEvPT_PKS4_jjjS4_T1_,comdat
.Lfunc_end53:
	.size	_ZN2at6native28tensor_kernel_scan_outer_dimIdmSt10multipliesIdEEEvPT_PKS4_jjjS4_T1_, .Lfunc_end53-_ZN2at6native28tensor_kernel_scan_outer_dimIdmSt10multipliesIdEEEvPT_PKS4_jjjS4_T1_
                                        ; -- End function
	.section	.AMDGPU.csdata,"",@progbits
; Kernel info:
; codeLenInByte = 328
; NumSgprs: 36
; NumVgprs: 12
; NumAgprs: 0
; TotalNumVgprs: 12
; ScratchSize: 0
; MemoryBound: 0
; FloatMode: 240
; IeeeMode: 1
; LDSByteSize: 0 bytes/workgroup (compile time only)
; SGPRBlocks: 4
; VGPRBlocks: 1
; NumSGPRsForWavesPerEU: 36
; NumVGPRsForWavesPerEU: 12
; AccumOffset: 12
; Occupancy: 8
; WaveLimiterHint : 0
; COMPUTE_PGM_RSRC2:SCRATCH_EN: 0
; COMPUTE_PGM_RSRC2:USER_SGPR: 2
; COMPUTE_PGM_RSRC2:TRAP_HANDLER: 0
; COMPUTE_PGM_RSRC2:TGID_X_EN: 1
; COMPUTE_PGM_RSRC2:TGID_Y_EN: 1
; COMPUTE_PGM_RSRC2:TGID_Z_EN: 0
; COMPUTE_PGM_RSRC2:TIDIG_COMP_CNT: 0
; COMPUTE_PGM_RSRC3_GFX90A:ACCUM_OFFSET: 2
; COMPUTE_PGM_RSRC3_GFX90A:TG_SPLIT: 0
	.section	.text._ZN7rocprim17ROCPRIM_304000_NS6detail31init_lookback_scan_state_kernelINS1_19lookback_scan_stateIfLb1ELb1EEEEEvT_jjPNS5_10value_typeE,"axG",@progbits,_ZN7rocprim17ROCPRIM_304000_NS6detail31init_lookback_scan_state_kernelINS1_19lookback_scan_stateIfLb1ELb1EEEEEvT_jjPNS5_10value_typeE,comdat
	.protected	_ZN7rocprim17ROCPRIM_304000_NS6detail31init_lookback_scan_state_kernelINS1_19lookback_scan_stateIfLb1ELb1EEEEEvT_jjPNS5_10value_typeE ; -- Begin function _ZN7rocprim17ROCPRIM_304000_NS6detail31init_lookback_scan_state_kernelINS1_19lookback_scan_stateIfLb1ELb1EEEEEvT_jjPNS5_10value_typeE
	.globl	_ZN7rocprim17ROCPRIM_304000_NS6detail31init_lookback_scan_state_kernelINS1_19lookback_scan_stateIfLb1ELb1EEEEEvT_jjPNS5_10value_typeE
	.p2align	8
	.type	_ZN7rocprim17ROCPRIM_304000_NS6detail31init_lookback_scan_state_kernelINS1_19lookback_scan_stateIfLb1ELb1EEEEEvT_jjPNS5_10value_typeE,@function
_ZN7rocprim17ROCPRIM_304000_NS6detail31init_lookback_scan_state_kernelINS1_19lookback_scan_stateIfLb1ELb1EEEEEvT_jjPNS5_10value_typeE: ; @_ZN7rocprim17ROCPRIM_304000_NS6detail31init_lookback_scan_state_kernelINS1_19lookback_scan_stateIfLb1ELb1EEEEEvT_jjPNS5_10value_typeE
; %bb.0:
	s_load_dword s3, s[0:1], 0x24
	s_load_dwordx2 s[8:9], s[0:1], 0x10
	s_load_dwordx4 s[4:7], s[0:1], 0x0
	s_waitcnt lgkmcnt(0)
	s_and_b32 s0, s3, 0xffff
	s_mul_i32 s2, s2, s0
	s_cmp_eq_u64 s[8:9], 0
	v_add_u32_e32 v0, s2, v0
	s_cbranch_scc1 .LBB54_9
; %bb.1:
	s_cmp_lt_u32 s7, s6
	s_cselect_b32 s0, s7, 0
	s_mov_b32 s3, 0
	v_cmp_eq_u32_e32 vcc, s0, v0
	s_and_saveexec_b64 s[0:1], vcc
	s_cbranch_execz .LBB54_8
; %bb.2:
	s_add_i32 s2, s7, 64
	s_lshl_b64 s[2:3], s[2:3], 3
	s_add_u32 s2, s4, s2
	s_addc_u32 s3, s5, s3
	v_mov_b32_e32 v2, 0
	global_load_dwordx2 v[4:5], v2, s[2:3] sc1
	s_waitcnt vmcnt(0)
	v_and_b32_e32 v3, 0xff, v5
	v_cmp_ne_u64_e32 vcc, 0, v[2:3]
	s_cbranch_vccnz .LBB54_7
; %bb.3:
	s_mov_b32 s7, 1
.LBB54_4:                               ; =>This Loop Header: Depth=1
                                        ;     Child Loop BB54_5 Depth 2
	s_max_u32 s10, s7, 1
.LBB54_5:                               ;   Parent Loop BB54_4 Depth=1
                                        ; =>  This Inner Loop Header: Depth=2
	s_add_i32 s10, s10, -1
	s_cmp_eq_u32 s10, 0
	s_sleep 1
	s_cbranch_scc0 .LBB54_5
; %bb.6:                                ;   in Loop: Header=BB54_4 Depth=1
	global_load_dwordx2 v[4:5], v2, s[2:3] sc1
	s_cmp_lt_u32 s7, 32
	s_cselect_b64 s[10:11], -1, 0
	s_cmp_lg_u64 s[10:11], 0
	s_addc_u32 s7, s7, 0
	s_waitcnt vmcnt(0)
	v_and_b32_e32 v3, 0xff, v5
	v_cmp_ne_u64_e32 vcc, 0, v[2:3]
	s_cbranch_vccz .LBB54_4
.LBB54_7:
	v_mov_b32_e32 v1, 0
	global_store_dword v1, v4, s[8:9]
.LBB54_8:
	s_or_b64 exec, exec, s[0:1]
.LBB54_9:
	v_cmp_gt_u32_e32 vcc, s6, v0
	s_and_saveexec_b64 s[0:1], vcc
	s_cbranch_execnz .LBB54_12
; %bb.10:
	s_or_b64 exec, exec, s[0:1]
	v_cmp_gt_u32_e32 vcc, 64, v0
	s_and_saveexec_b64 s[0:1], vcc
	s_cbranch_execnz .LBB54_13
.LBB54_11:
	s_endpgm
.LBB54_12:
	v_add_u32_e32 v2, 64, v0
	v_mov_b32_e32 v3, 0
	v_lshl_add_u64 v[4:5], v[2:3], 3, s[4:5]
	v_mov_b32_e32 v2, v3
	global_store_dwordx2 v[4:5], v[2:3], off
	s_or_b64 exec, exec, s[0:1]
	v_cmp_gt_u32_e32 vcc, 64, v0
	s_and_saveexec_b64 s[0:1], vcc
	s_cbranch_execz .LBB54_11
.LBB54_13:
	v_mov_b32_e32 v1, 0
	v_lshl_add_u64 v[2:3], v[0:1], 3, s[4:5]
	v_mov_b32_e32 v5, 0xff
	v_mov_b32_e32 v4, v1
	global_store_dwordx2 v[2:3], v[4:5], off
	s_endpgm
	.section	.rodata,"a",@progbits
	.p2align	6, 0x0
	.amdhsa_kernel _ZN7rocprim17ROCPRIM_304000_NS6detail31init_lookback_scan_state_kernelINS1_19lookback_scan_stateIfLb1ELb1EEEEEvT_jjPNS5_10value_typeE
		.amdhsa_group_segment_fixed_size 0
		.amdhsa_private_segment_fixed_size 0
		.amdhsa_kernarg_size 280
		.amdhsa_user_sgpr_count 2
		.amdhsa_user_sgpr_dispatch_ptr 0
		.amdhsa_user_sgpr_queue_ptr 0
		.amdhsa_user_sgpr_kernarg_segment_ptr 1
		.amdhsa_user_sgpr_dispatch_id 0
		.amdhsa_user_sgpr_kernarg_preload_length 0
		.amdhsa_user_sgpr_kernarg_preload_offset 0
		.amdhsa_user_sgpr_private_segment_size 0
		.amdhsa_uses_dynamic_stack 0
		.amdhsa_enable_private_segment 0
		.amdhsa_system_sgpr_workgroup_id_x 1
		.amdhsa_system_sgpr_workgroup_id_y 0
		.amdhsa_system_sgpr_workgroup_id_z 0
		.amdhsa_system_sgpr_workgroup_info 0
		.amdhsa_system_vgpr_workitem_id 0
		.amdhsa_next_free_vgpr 6
		.amdhsa_next_free_sgpr 12
		.amdhsa_accum_offset 8
		.amdhsa_reserve_vcc 1
		.amdhsa_float_round_mode_32 0
		.amdhsa_float_round_mode_16_64 0
		.amdhsa_float_denorm_mode_32 3
		.amdhsa_float_denorm_mode_16_64 3
		.amdhsa_dx10_clamp 1
		.amdhsa_ieee_mode 1
		.amdhsa_fp16_overflow 0
		.amdhsa_tg_split 0
		.amdhsa_exception_fp_ieee_invalid_op 0
		.amdhsa_exception_fp_denorm_src 0
		.amdhsa_exception_fp_ieee_div_zero 0
		.amdhsa_exception_fp_ieee_overflow 0
		.amdhsa_exception_fp_ieee_underflow 0
		.amdhsa_exception_fp_ieee_inexact 0
		.amdhsa_exception_int_div_zero 0
	.end_amdhsa_kernel
	.section	.text._ZN7rocprim17ROCPRIM_304000_NS6detail31init_lookback_scan_state_kernelINS1_19lookback_scan_stateIfLb1ELb1EEEEEvT_jjPNS5_10value_typeE,"axG",@progbits,_ZN7rocprim17ROCPRIM_304000_NS6detail31init_lookback_scan_state_kernelINS1_19lookback_scan_stateIfLb1ELb1EEEEEvT_jjPNS5_10value_typeE,comdat
.Lfunc_end54:
	.size	_ZN7rocprim17ROCPRIM_304000_NS6detail31init_lookback_scan_state_kernelINS1_19lookback_scan_stateIfLb1ELb1EEEEEvT_jjPNS5_10value_typeE, .Lfunc_end54-_ZN7rocprim17ROCPRIM_304000_NS6detail31init_lookback_scan_state_kernelINS1_19lookback_scan_stateIfLb1ELb1EEEEEvT_jjPNS5_10value_typeE
                                        ; -- End function
	.section	.AMDGPU.csdata,"",@progbits
; Kernel info:
; codeLenInByte = 320
; NumSgprs: 18
; NumVgprs: 6
; NumAgprs: 0
; TotalNumVgprs: 6
; ScratchSize: 0
; MemoryBound: 0
; FloatMode: 240
; IeeeMode: 1
; LDSByteSize: 0 bytes/workgroup (compile time only)
; SGPRBlocks: 2
; VGPRBlocks: 0
; NumSGPRsForWavesPerEU: 18
; NumVGPRsForWavesPerEU: 6
; AccumOffset: 8
; Occupancy: 8
; WaveLimiterHint : 0
; COMPUTE_PGM_RSRC2:SCRATCH_EN: 0
; COMPUTE_PGM_RSRC2:USER_SGPR: 2
; COMPUTE_PGM_RSRC2:TRAP_HANDLER: 0
; COMPUTE_PGM_RSRC2:TGID_X_EN: 1
; COMPUTE_PGM_RSRC2:TGID_Y_EN: 0
; COMPUTE_PGM_RSRC2:TGID_Z_EN: 0
; COMPUTE_PGM_RSRC2:TIDIG_COMP_CNT: 0
; COMPUTE_PGM_RSRC3_GFX90A:ACCUM_OFFSET: 1
; COMPUTE_PGM_RSRC3_GFX90A:TG_SPLIT: 0
	.section	.text._ZN7rocprim17ROCPRIM_304000_NS6detail31init_lookback_scan_state_kernelINS1_19lookback_scan_stateIfLb0ELb1EEEEEvT_jjPNS5_10value_typeE,"axG",@progbits,_ZN7rocprim17ROCPRIM_304000_NS6detail31init_lookback_scan_state_kernelINS1_19lookback_scan_stateIfLb0ELb1EEEEEvT_jjPNS5_10value_typeE,comdat
	.protected	_ZN7rocprim17ROCPRIM_304000_NS6detail31init_lookback_scan_state_kernelINS1_19lookback_scan_stateIfLb0ELb1EEEEEvT_jjPNS5_10value_typeE ; -- Begin function _ZN7rocprim17ROCPRIM_304000_NS6detail31init_lookback_scan_state_kernelINS1_19lookback_scan_stateIfLb0ELb1EEEEEvT_jjPNS5_10value_typeE
	.globl	_ZN7rocprim17ROCPRIM_304000_NS6detail31init_lookback_scan_state_kernelINS1_19lookback_scan_stateIfLb0ELb1EEEEEvT_jjPNS5_10value_typeE
	.p2align	8
	.type	_ZN7rocprim17ROCPRIM_304000_NS6detail31init_lookback_scan_state_kernelINS1_19lookback_scan_stateIfLb0ELb1EEEEEvT_jjPNS5_10value_typeE,@function
_ZN7rocprim17ROCPRIM_304000_NS6detail31init_lookback_scan_state_kernelINS1_19lookback_scan_stateIfLb0ELb1EEEEEvT_jjPNS5_10value_typeE: ; @_ZN7rocprim17ROCPRIM_304000_NS6detail31init_lookback_scan_state_kernelINS1_19lookback_scan_stateIfLb0ELb1EEEEEvT_jjPNS5_10value_typeE
; %bb.0:
	s_load_dword s3, s[0:1], 0x24
	s_load_dwordx2 s[8:9], s[0:1], 0x10
	s_load_dwordx4 s[4:7], s[0:1], 0x0
	s_waitcnt lgkmcnt(0)
	s_and_b32 s0, s3, 0xffff
	s_mul_i32 s2, s2, s0
	s_cmp_eq_u64 s[8:9], 0
	v_add_u32_e32 v0, s2, v0
	s_cbranch_scc1 .LBB55_6
; %bb.1:
	s_cmp_lt_u32 s7, s6
	s_cselect_b32 s0, s7, 0
	s_mov_b32 s3, 0
	v_cmp_eq_u32_e32 vcc, s0, v0
	s_and_saveexec_b64 s[0:1], vcc
	s_cbranch_execz .LBB55_5
; %bb.2:
	s_add_i32 s2, s7, 64
	s_lshl_b64 s[2:3], s[2:3], 3
	s_add_u32 s2, s4, s2
	s_addc_u32 s3, s5, s3
	v_mov_b32_e32 v4, 0
	global_load_dwordx2 v[2:3], v4, s[2:3] sc1
	s_waitcnt vmcnt(0)
	v_and_b32_e32 v5, 0xff, v3
	v_cmp_ne_u64_e32 vcc, 0, v[4:5]
	s_cbranch_vccnz .LBB55_4
.LBB55_3:                               ; =>This Inner Loop Header: Depth=1
	global_load_dwordx2 v[2:3], v4, s[2:3] sc1
	s_waitcnt vmcnt(0)
	v_and_b32_e32 v5, 0xff, v3
	v_cmp_eq_u64_e32 vcc, 0, v[4:5]
	s_cbranch_vccnz .LBB55_3
.LBB55_4:
	v_mov_b32_e32 v1, 0
	global_store_dword v1, v2, s[8:9]
.LBB55_5:
	s_or_b64 exec, exec, s[0:1]
.LBB55_6:
	v_cmp_gt_u32_e32 vcc, s6, v0
	s_and_saveexec_b64 s[0:1], vcc
	s_cbranch_execnz .LBB55_9
; %bb.7:
	s_or_b64 exec, exec, s[0:1]
	v_cmp_gt_u32_e32 vcc, 64, v0
	s_and_saveexec_b64 s[0:1], vcc
	s_cbranch_execnz .LBB55_10
.LBB55_8:
	s_endpgm
.LBB55_9:
	v_add_u32_e32 v2, 64, v0
	v_mov_b32_e32 v3, 0
	v_lshl_add_u64 v[4:5], v[2:3], 3, s[4:5]
	v_mov_b32_e32 v2, v3
	global_store_dwordx2 v[4:5], v[2:3], off
	s_or_b64 exec, exec, s[0:1]
	v_cmp_gt_u32_e32 vcc, 64, v0
	s_and_saveexec_b64 s[0:1], vcc
	s_cbranch_execz .LBB55_8
.LBB55_10:
	v_mov_b32_e32 v1, 0
	v_lshl_add_u64 v[2:3], v[0:1], 3, s[4:5]
	v_mov_b32_e32 v5, 0xff
	v_mov_b32_e32 v4, v1
	global_store_dwordx2 v[2:3], v[4:5], off
	s_endpgm
	.section	.rodata,"a",@progbits
	.p2align	6, 0x0
	.amdhsa_kernel _ZN7rocprim17ROCPRIM_304000_NS6detail31init_lookback_scan_state_kernelINS1_19lookback_scan_stateIfLb0ELb1EEEEEvT_jjPNS5_10value_typeE
		.amdhsa_group_segment_fixed_size 0
		.amdhsa_private_segment_fixed_size 0
		.amdhsa_kernarg_size 280
		.amdhsa_user_sgpr_count 2
		.amdhsa_user_sgpr_dispatch_ptr 0
		.amdhsa_user_sgpr_queue_ptr 0
		.amdhsa_user_sgpr_kernarg_segment_ptr 1
		.amdhsa_user_sgpr_dispatch_id 0
		.amdhsa_user_sgpr_kernarg_preload_length 0
		.amdhsa_user_sgpr_kernarg_preload_offset 0
		.amdhsa_user_sgpr_private_segment_size 0
		.amdhsa_uses_dynamic_stack 0
		.amdhsa_enable_private_segment 0
		.amdhsa_system_sgpr_workgroup_id_x 1
		.amdhsa_system_sgpr_workgroup_id_y 0
		.amdhsa_system_sgpr_workgroup_id_z 0
		.amdhsa_system_sgpr_workgroup_info 0
		.amdhsa_system_vgpr_workitem_id 0
		.amdhsa_next_free_vgpr 6
		.amdhsa_next_free_sgpr 10
		.amdhsa_accum_offset 8
		.amdhsa_reserve_vcc 1
		.amdhsa_float_round_mode_32 0
		.amdhsa_float_round_mode_16_64 0
		.amdhsa_float_denorm_mode_32 3
		.amdhsa_float_denorm_mode_16_64 3
		.amdhsa_dx10_clamp 1
		.amdhsa_ieee_mode 1
		.amdhsa_fp16_overflow 0
		.amdhsa_tg_split 0
		.amdhsa_exception_fp_ieee_invalid_op 0
		.amdhsa_exception_fp_denorm_src 0
		.amdhsa_exception_fp_ieee_div_zero 0
		.amdhsa_exception_fp_ieee_overflow 0
		.amdhsa_exception_fp_ieee_underflow 0
		.amdhsa_exception_fp_ieee_inexact 0
		.amdhsa_exception_int_div_zero 0
	.end_amdhsa_kernel
	.section	.text._ZN7rocprim17ROCPRIM_304000_NS6detail31init_lookback_scan_state_kernelINS1_19lookback_scan_stateIfLb0ELb1EEEEEvT_jjPNS5_10value_typeE,"axG",@progbits,_ZN7rocprim17ROCPRIM_304000_NS6detail31init_lookback_scan_state_kernelINS1_19lookback_scan_stateIfLb0ELb1EEEEEvT_jjPNS5_10value_typeE,comdat
.Lfunc_end55:
	.size	_ZN7rocprim17ROCPRIM_304000_NS6detail31init_lookback_scan_state_kernelINS1_19lookback_scan_stateIfLb0ELb1EEEEEvT_jjPNS5_10value_typeE, .Lfunc_end55-_ZN7rocprim17ROCPRIM_304000_NS6detail31init_lookback_scan_state_kernelINS1_19lookback_scan_stateIfLb0ELb1EEEEEvT_jjPNS5_10value_typeE
                                        ; -- End function
	.section	.AMDGPU.csdata,"",@progbits
; Kernel info:
; codeLenInByte = 280
; NumSgprs: 16
; NumVgprs: 6
; NumAgprs: 0
; TotalNumVgprs: 6
; ScratchSize: 0
; MemoryBound: 0
; FloatMode: 240
; IeeeMode: 1
; LDSByteSize: 0 bytes/workgroup (compile time only)
; SGPRBlocks: 1
; VGPRBlocks: 0
; NumSGPRsForWavesPerEU: 16
; NumVGPRsForWavesPerEU: 6
; AccumOffset: 8
; Occupancy: 8
; WaveLimiterHint : 0
; COMPUTE_PGM_RSRC2:SCRATCH_EN: 0
; COMPUTE_PGM_RSRC2:USER_SGPR: 2
; COMPUTE_PGM_RSRC2:TRAP_HANDLER: 0
; COMPUTE_PGM_RSRC2:TGID_X_EN: 1
; COMPUTE_PGM_RSRC2:TGID_Y_EN: 0
; COMPUTE_PGM_RSRC2:TGID_Z_EN: 0
; COMPUTE_PGM_RSRC2:TIDIG_COMP_CNT: 0
; COMPUTE_PGM_RSRC3_GFX90A:ACCUM_OFFSET: 1
; COMPUTE_PGM_RSRC3_GFX90A:TG_SPLIT: 0
	.section	.text._ZN7rocprim17ROCPRIM_304000_NS6detail20lookback_scan_kernelILNS1_25lookback_scan_determinismE0ELb0ENS1_19wrapped_scan_configINS0_14default_configEfEEPKfPfSt10multipliesIfEffNS1_19lookback_scan_stateIfLb1ELb1EEEEEvT2_T3_mT5_T4_T7_jPT6_SK_bb,"axG",@progbits,_ZN7rocprim17ROCPRIM_304000_NS6detail20lookback_scan_kernelILNS1_25lookback_scan_determinismE0ELb0ENS1_19wrapped_scan_configINS0_14default_configEfEEPKfPfSt10multipliesIfEffNS1_19lookback_scan_stateIfLb1ELb1EEEEEvT2_T3_mT5_T4_T7_jPT6_SK_bb,comdat
	.protected	_ZN7rocprim17ROCPRIM_304000_NS6detail20lookback_scan_kernelILNS1_25lookback_scan_determinismE0ELb0ENS1_19wrapped_scan_configINS0_14default_configEfEEPKfPfSt10multipliesIfEffNS1_19lookback_scan_stateIfLb1ELb1EEEEEvT2_T3_mT5_T4_T7_jPT6_SK_bb ; -- Begin function _ZN7rocprim17ROCPRIM_304000_NS6detail20lookback_scan_kernelILNS1_25lookback_scan_determinismE0ELb0ENS1_19wrapped_scan_configINS0_14default_configEfEEPKfPfSt10multipliesIfEffNS1_19lookback_scan_stateIfLb1ELb1EEEEEvT2_T3_mT5_T4_T7_jPT6_SK_bb
	.globl	_ZN7rocprim17ROCPRIM_304000_NS6detail20lookback_scan_kernelILNS1_25lookback_scan_determinismE0ELb0ENS1_19wrapped_scan_configINS0_14default_configEfEEPKfPfSt10multipliesIfEffNS1_19lookback_scan_stateIfLb1ELb1EEEEEvT2_T3_mT5_T4_T7_jPT6_SK_bb
	.p2align	8
	.type	_ZN7rocprim17ROCPRIM_304000_NS6detail20lookback_scan_kernelILNS1_25lookback_scan_determinismE0ELb0ENS1_19wrapped_scan_configINS0_14default_configEfEEPKfPfSt10multipliesIfEffNS1_19lookback_scan_stateIfLb1ELb1EEEEEvT2_T3_mT5_T4_T7_jPT6_SK_bb,@function
_ZN7rocprim17ROCPRIM_304000_NS6detail20lookback_scan_kernelILNS1_25lookback_scan_determinismE0ELb0ENS1_19wrapped_scan_configINS0_14default_configEfEEPKfPfSt10multipliesIfEffNS1_19lookback_scan_stateIfLb1ELb1EEEEEvT2_T3_mT5_T4_T7_jPT6_SK_bb: ; @_ZN7rocprim17ROCPRIM_304000_NS6detail20lookback_scan_kernelILNS1_25lookback_scan_determinismE0ELb0ENS1_19wrapped_scan_configINS0_14default_configEfEEPKfPfSt10multipliesIfEffNS1_19lookback_scan_stateIfLb1ELb1EEEEEvT2_T3_mT5_T4_T7_jPT6_SK_bb
; %bb.0:
	s_endpgm
	.section	.rodata,"a",@progbits
	.p2align	6, 0x0
	.amdhsa_kernel _ZN7rocprim17ROCPRIM_304000_NS6detail20lookback_scan_kernelILNS1_25lookback_scan_determinismE0ELb0ENS1_19wrapped_scan_configINS0_14default_configEfEEPKfPfSt10multipliesIfEffNS1_19lookback_scan_stateIfLb1ELb1EEEEEvT2_T3_mT5_T4_T7_jPT6_SK_bb
		.amdhsa_group_segment_fixed_size 0
		.amdhsa_private_segment_fixed_size 0
		.amdhsa_kernarg_size 68
		.amdhsa_user_sgpr_count 2
		.amdhsa_user_sgpr_dispatch_ptr 0
		.amdhsa_user_sgpr_queue_ptr 0
		.amdhsa_user_sgpr_kernarg_segment_ptr 1
		.amdhsa_user_sgpr_dispatch_id 0
		.amdhsa_user_sgpr_kernarg_preload_length 0
		.amdhsa_user_sgpr_kernarg_preload_offset 0
		.amdhsa_user_sgpr_private_segment_size 0
		.amdhsa_uses_dynamic_stack 0
		.amdhsa_enable_private_segment 0
		.amdhsa_system_sgpr_workgroup_id_x 1
		.amdhsa_system_sgpr_workgroup_id_y 0
		.amdhsa_system_sgpr_workgroup_id_z 0
		.amdhsa_system_sgpr_workgroup_info 0
		.amdhsa_system_vgpr_workitem_id 0
		.amdhsa_next_free_vgpr 1
		.amdhsa_next_free_sgpr 0
		.amdhsa_accum_offset 4
		.amdhsa_reserve_vcc 0
		.amdhsa_float_round_mode_32 0
		.amdhsa_float_round_mode_16_64 0
		.amdhsa_float_denorm_mode_32 3
		.amdhsa_float_denorm_mode_16_64 3
		.amdhsa_dx10_clamp 1
		.amdhsa_ieee_mode 1
		.amdhsa_fp16_overflow 0
		.amdhsa_tg_split 0
		.amdhsa_exception_fp_ieee_invalid_op 0
		.amdhsa_exception_fp_denorm_src 0
		.amdhsa_exception_fp_ieee_div_zero 0
		.amdhsa_exception_fp_ieee_overflow 0
		.amdhsa_exception_fp_ieee_underflow 0
		.amdhsa_exception_fp_ieee_inexact 0
		.amdhsa_exception_int_div_zero 0
	.end_amdhsa_kernel
	.section	.text._ZN7rocprim17ROCPRIM_304000_NS6detail20lookback_scan_kernelILNS1_25lookback_scan_determinismE0ELb0ENS1_19wrapped_scan_configINS0_14default_configEfEEPKfPfSt10multipliesIfEffNS1_19lookback_scan_stateIfLb1ELb1EEEEEvT2_T3_mT5_T4_T7_jPT6_SK_bb,"axG",@progbits,_ZN7rocprim17ROCPRIM_304000_NS6detail20lookback_scan_kernelILNS1_25lookback_scan_determinismE0ELb0ENS1_19wrapped_scan_configINS0_14default_configEfEEPKfPfSt10multipliesIfEffNS1_19lookback_scan_stateIfLb1ELb1EEEEEvT2_T3_mT5_T4_T7_jPT6_SK_bb,comdat
.Lfunc_end56:
	.size	_ZN7rocprim17ROCPRIM_304000_NS6detail20lookback_scan_kernelILNS1_25lookback_scan_determinismE0ELb0ENS1_19wrapped_scan_configINS0_14default_configEfEEPKfPfSt10multipliesIfEffNS1_19lookback_scan_stateIfLb1ELb1EEEEEvT2_T3_mT5_T4_T7_jPT6_SK_bb, .Lfunc_end56-_ZN7rocprim17ROCPRIM_304000_NS6detail20lookback_scan_kernelILNS1_25lookback_scan_determinismE0ELb0ENS1_19wrapped_scan_configINS0_14default_configEfEEPKfPfSt10multipliesIfEffNS1_19lookback_scan_stateIfLb1ELb1EEEEEvT2_T3_mT5_T4_T7_jPT6_SK_bb
                                        ; -- End function
	.section	.AMDGPU.csdata,"",@progbits
; Kernel info:
; codeLenInByte = 4
; NumSgprs: 6
; NumVgprs: 0
; NumAgprs: 0
; TotalNumVgprs: 0
; ScratchSize: 0
; MemoryBound: 0
; FloatMode: 240
; IeeeMode: 1
; LDSByteSize: 0 bytes/workgroup (compile time only)
; SGPRBlocks: 0
; VGPRBlocks: 0
; NumSGPRsForWavesPerEU: 6
; NumVGPRsForWavesPerEU: 1
; AccumOffset: 4
; Occupancy: 8
; WaveLimiterHint : 0
; COMPUTE_PGM_RSRC2:SCRATCH_EN: 0
; COMPUTE_PGM_RSRC2:USER_SGPR: 2
; COMPUTE_PGM_RSRC2:TRAP_HANDLER: 0
; COMPUTE_PGM_RSRC2:TGID_X_EN: 1
; COMPUTE_PGM_RSRC2:TGID_Y_EN: 0
; COMPUTE_PGM_RSRC2:TGID_Z_EN: 0
; COMPUTE_PGM_RSRC2:TIDIG_COMP_CNT: 0
; COMPUTE_PGM_RSRC3_GFX90A:ACCUM_OFFSET: 0
; COMPUTE_PGM_RSRC3_GFX90A:TG_SPLIT: 0
	.section	.text._ZN7rocprim17ROCPRIM_304000_NS6detail20lookback_scan_kernelILNS1_25lookback_scan_determinismE0ELb0ENS1_19wrapped_scan_configINS0_14default_configEfEEPKfPfSt10multipliesIfEffNS1_19lookback_scan_stateIfLb0ELb1EEEEEvT2_T3_mT5_T4_T7_jPT6_SK_bb,"axG",@progbits,_ZN7rocprim17ROCPRIM_304000_NS6detail20lookback_scan_kernelILNS1_25lookback_scan_determinismE0ELb0ENS1_19wrapped_scan_configINS0_14default_configEfEEPKfPfSt10multipliesIfEffNS1_19lookback_scan_stateIfLb0ELb1EEEEEvT2_T3_mT5_T4_T7_jPT6_SK_bb,comdat
	.protected	_ZN7rocprim17ROCPRIM_304000_NS6detail20lookback_scan_kernelILNS1_25lookback_scan_determinismE0ELb0ENS1_19wrapped_scan_configINS0_14default_configEfEEPKfPfSt10multipliesIfEffNS1_19lookback_scan_stateIfLb0ELb1EEEEEvT2_T3_mT5_T4_T7_jPT6_SK_bb ; -- Begin function _ZN7rocprim17ROCPRIM_304000_NS6detail20lookback_scan_kernelILNS1_25lookback_scan_determinismE0ELb0ENS1_19wrapped_scan_configINS0_14default_configEfEEPKfPfSt10multipliesIfEffNS1_19lookback_scan_stateIfLb0ELb1EEEEEvT2_T3_mT5_T4_T7_jPT6_SK_bb
	.globl	_ZN7rocprim17ROCPRIM_304000_NS6detail20lookback_scan_kernelILNS1_25lookback_scan_determinismE0ELb0ENS1_19wrapped_scan_configINS0_14default_configEfEEPKfPfSt10multipliesIfEffNS1_19lookback_scan_stateIfLb0ELb1EEEEEvT2_T3_mT5_T4_T7_jPT6_SK_bb
	.p2align	8
	.type	_ZN7rocprim17ROCPRIM_304000_NS6detail20lookback_scan_kernelILNS1_25lookback_scan_determinismE0ELb0ENS1_19wrapped_scan_configINS0_14default_configEfEEPKfPfSt10multipliesIfEffNS1_19lookback_scan_stateIfLb0ELb1EEEEEvT2_T3_mT5_T4_T7_jPT6_SK_bb,@function
_ZN7rocprim17ROCPRIM_304000_NS6detail20lookback_scan_kernelILNS1_25lookback_scan_determinismE0ELb0ENS1_19wrapped_scan_configINS0_14default_configEfEEPKfPfSt10multipliesIfEffNS1_19lookback_scan_stateIfLb0ELb1EEEEEvT2_T3_mT5_T4_T7_jPT6_SK_bb: ; @_ZN7rocprim17ROCPRIM_304000_NS6detail20lookback_scan_kernelILNS1_25lookback_scan_determinismE0ELb0ENS1_19wrapped_scan_configINS0_14default_configEfEEPKfPfSt10multipliesIfEffNS1_19lookback_scan_stateIfLb0ELb1EEEEEvT2_T3_mT5_T4_T7_jPT6_SK_bb
; %bb.0:
	s_load_dword s3, s[0:1], 0x28
	s_load_dwordx4 s[8:11], s[0:1], 0x0
	s_load_dwordx2 s[4:5], s[0:1], 0x10
	s_mul_i32 s6, s2, 0x1800
	s_mov_b32 s7, 0
	s_waitcnt lgkmcnt(0)
	s_add_i32 s3, s3, -1
	s_mul_i32 s12, s3, 0x1800
	s_sub_u32 s22, s4, s12
	s_subb_u32 s23, s5, 0
	s_cmp_lg_u32 s2, s3
	s_cselect_b64 s[12:13], -1, 0
	s_lshl_b64 s[14:15], s[6:7], 2
	s_add_u32 s6, s8, s14
	s_addc_u32 s7, s9, s15
	s_mov_b64 s[4:5], -1
	s_and_b64 vcc, exec, s[12:13]
	v_lshlrev_b32_e32 v30, 2, v0
	s_cbranch_vccz .LBB57_2
; %bb.1:
	v_mov_b32_e32 v31, 0
	v_lshl_add_u64 v[2:3], s[6:7], 0, v[30:31]
	v_add_co_u32_e32 v4, vcc, 0x1000, v2
	global_load_dword v1, v30, s[6:7]
	global_load_dword v8, v30, s[6:7] offset:1024
	global_load_dword v9, v30, s[6:7] offset:2048
	;; [unrolled: 1-line block ×3, first 2 shown]
	v_addc_co_u32_e32 v5, vcc, 0, v3, vcc
	v_add_co_u32_e32 v6, vcc, 0x2000, v2
	s_mov_b64 s[4:5], 0
	s_nop 0
	v_addc_co_u32_e32 v7, vcc, 0, v3, vcc
	global_load_dword v11, v[4:5], off
	global_load_dword v12, v[4:5], off offset:1024
	global_load_dword v13, v[4:5], off offset:2048
	;; [unrolled: 1-line block ×3, first 2 shown]
	global_load_dword v15, v[6:7], off
	global_load_dword v16, v[6:7], off offset:1024
	global_load_dword v17, v[6:7], off offset:2048
	global_load_dword v18, v[6:7], off offset:3072
	v_add_co_u32_e32 v4, vcc, 0x3000, v2
	s_nop 1
	v_addc_co_u32_e32 v5, vcc, 0, v3, vcc
	v_add_co_u32_e32 v6, vcc, 0x4000, v2
	s_nop 1
	v_addc_co_u32_e32 v7, vcc, 0, v3, vcc
	v_add_co_u32_e32 v2, vcc, 0x5000, v2
	global_load_dword v19, v[4:5], off
	global_load_dword v20, v[4:5], off offset:1024
	global_load_dword v21, v[4:5], off offset:2048
	;; [unrolled: 1-line block ×3, first 2 shown]
	global_load_dword v23, v[6:7], off
	global_load_dword v24, v[6:7], off offset:1024
	global_load_dword v25, v[6:7], off offset:2048
	;; [unrolled: 1-line block ×3, first 2 shown]
	v_addc_co_u32_e32 v3, vcc, 0, v3, vcc
	global_load_dword v4, v[2:3], off
	global_load_dword v5, v[2:3], off offset:1024
	global_load_dword v6, v[2:3], off offset:2048
	global_load_dword v7, v[2:3], off offset:3072
	s_waitcnt vmcnt(22)
	ds_write2st64_b32 v30, v1, v8 offset1:4
	s_waitcnt vmcnt(20)
	ds_write2st64_b32 v30, v9, v10 offset0:8 offset1:12
	s_waitcnt vmcnt(18)
	ds_write2st64_b32 v30, v11, v12 offset0:16 offset1:20
	;; [unrolled: 2-line block ×11, first 2 shown]
	s_waitcnt lgkmcnt(0)
	s_barrier
.LBB57_2:
	s_andn2_b64 vcc, exec, s[4:5]
	v_cmp_gt_u32_e64 s[4:5], s22, v0
	s_cbranch_vccnz .LBB57_52
; %bb.3:
	s_load_dword s3, s[6:7], 0x0
	v_mov_b32_e32 v31, 0
	v_lshl_add_u64 v[2:3], s[6:7], 0, v[30:31]
	s_waitcnt lgkmcnt(0)
	v_mov_b32_e32 v1, s3
	s_and_saveexec_b64 s[6:7], s[4:5]
	s_cbranch_execz .LBB57_5
; %bb.4:
	global_load_dword v1, v[2:3], off
.LBB57_5:
	s_or_b64 exec, exec, s[6:7]
	v_or_b32_e32 v4, 0x100, v0
	v_cmp_gt_u32_e32 vcc, s22, v4
	v_mov_b32_e32 v4, s3
	s_and_saveexec_b64 s[4:5], vcc
	s_cbranch_execz .LBB57_7
; %bb.6:
	global_load_dword v4, v[2:3], off offset:1024
.LBB57_7:
	s_or_b64 exec, exec, s[4:5]
	v_or_b32_e32 v5, 0x200, v0
	v_cmp_gt_u32_e32 vcc, s22, v5
	v_mov_b32_e32 v5, s3
	s_and_saveexec_b64 s[4:5], vcc
	s_cbranch_execz .LBB57_9
; %bb.8:
	global_load_dword v5, v[2:3], off offset:2048
.LBB57_9:
	;; [unrolled: 9-line block ×3, first 2 shown]
	s_or_b64 exec, exec, s[4:5]
	v_or_b32_e32 v7, 0x400, v0
	v_cmp_gt_u32_e32 vcc, s22, v7
	v_mov_b32_e32 v7, s3
	s_and_saveexec_b64 s[4:5], vcc
	s_cbranch_execz .LBB57_13
; %bb.12:
	v_add_co_u32_e32 v8, vcc, 0x1000, v2
	s_nop 1
	v_addc_co_u32_e32 v9, vcc, 0, v3, vcc
	global_load_dword v7, v[8:9], off
.LBB57_13:
	s_or_b64 exec, exec, s[4:5]
	v_or_b32_e32 v8, 0x500, v0
	v_cmp_gt_u32_e32 vcc, s22, v8
	v_mov_b32_e32 v8, s3
	s_and_saveexec_b64 s[4:5], vcc
	s_cbranch_execz .LBB57_15
; %bb.14:
	v_add_co_u32_e32 v8, vcc, 0x1000, v2
	s_nop 1
	v_addc_co_u32_e32 v9, vcc, 0, v3, vcc
	global_load_dword v8, v[8:9], off offset:1024
.LBB57_15:
	s_or_b64 exec, exec, s[4:5]
	v_or_b32_e32 v9, 0x600, v0
	v_cmp_gt_u32_e32 vcc, s22, v9
	v_mov_b32_e32 v9, s3
	s_and_saveexec_b64 s[4:5], vcc
	s_cbranch_execz .LBB57_17
; %bb.16:
	v_add_co_u32_e32 v10, vcc, 0x1000, v2
	s_nop 1
	v_addc_co_u32_e32 v11, vcc, 0, v3, vcc
	global_load_dword v9, v[10:11], off offset:2048
.LBB57_17:
	s_or_b64 exec, exec, s[4:5]
	v_or_b32_e32 v10, 0x700, v0
	v_cmp_gt_u32_e32 vcc, s22, v10
	v_mov_b32_e32 v10, s3
	s_and_saveexec_b64 s[4:5], vcc
	s_cbranch_execz .LBB57_19
; %bb.18:
	v_add_co_u32_e32 v10, vcc, 0x1000, v2
	s_nop 1
	v_addc_co_u32_e32 v11, vcc, 0, v3, vcc
	global_load_dword v10, v[10:11], off offset:3072
.LBB57_19:
	s_or_b64 exec, exec, s[4:5]
	v_or_b32_e32 v11, 0x800, v0
	v_cmp_gt_u32_e32 vcc, s22, v11
	v_mov_b32_e32 v11, s3
	s_and_saveexec_b64 s[4:5], vcc
	s_cbranch_execz .LBB57_21
; %bb.20:
	v_add_co_u32_e32 v12, vcc, 0x2000, v2
	s_nop 1
	v_addc_co_u32_e32 v13, vcc, 0, v3, vcc
	global_load_dword v11, v[12:13], off
.LBB57_21:
	s_or_b64 exec, exec, s[4:5]
	v_or_b32_e32 v12, 0x900, v0
	v_cmp_gt_u32_e32 vcc, s22, v12
	v_mov_b32_e32 v12, s3
	s_and_saveexec_b64 s[4:5], vcc
	s_cbranch_execz .LBB57_23
; %bb.22:
	v_add_co_u32_e32 v12, vcc, 0x2000, v2
	s_nop 1
	v_addc_co_u32_e32 v13, vcc, 0, v3, vcc
	global_load_dword v12, v[12:13], off offset:1024
.LBB57_23:
	s_or_b64 exec, exec, s[4:5]
	v_or_b32_e32 v13, 0xa00, v0
	v_cmp_gt_u32_e32 vcc, s22, v13
	v_mov_b32_e32 v13, s3
	s_and_saveexec_b64 s[4:5], vcc
	s_cbranch_execz .LBB57_25
; %bb.24:
	v_add_co_u32_e32 v14, vcc, 0x2000, v2
	s_nop 1
	v_addc_co_u32_e32 v15, vcc, 0, v3, vcc
	global_load_dword v13, v[14:15], off offset:2048
.LBB57_25:
	s_or_b64 exec, exec, s[4:5]
	v_or_b32_e32 v14, 0xb00, v0
	v_cmp_gt_u32_e32 vcc, s22, v14
	v_mov_b32_e32 v14, s3
	s_and_saveexec_b64 s[4:5], vcc
	s_cbranch_execz .LBB57_27
; %bb.26:
	v_add_co_u32_e32 v14, vcc, 0x2000, v2
	s_nop 1
	v_addc_co_u32_e32 v15, vcc, 0, v3, vcc
	global_load_dword v14, v[14:15], off offset:3072
.LBB57_27:
	;; [unrolled: 48-line block ×5, first 2 shown]
	s_or_b64 exec, exec, s[4:5]
	s_waitcnt vmcnt(0)
	ds_write2st64_b32 v30, v1, v4 offset1:4
	ds_write2st64_b32 v30, v5, v6 offset0:8 offset1:12
	ds_write2st64_b32 v30, v7, v8 offset0:16 offset1:20
	;; [unrolled: 1-line block ×11, first 2 shown]
	s_waitcnt lgkmcnt(0)
	s_barrier
.LBB57_52:
	v_mul_u32_u24_e32 v38, 24, v0
	v_lshlrev_b32_e32 v1, 2, v38
	ds_read_b128 v[22:25], v1
	ds_read_b128 v[18:21], v1 offset:16
	ds_read_b128 v[14:17], v1 offset:32
	;; [unrolled: 1-line block ×5, first 2 shown]
	s_load_dwordx2 s[8:9], s[0:1], 0x20
	s_cmp_lg_u32 s2, 0
	v_lshrrev_b32_e32 v31, 5, v0
	v_cmp_gt_u32_e32 vcc, 64, v0
	s_waitcnt lgkmcnt(0)
	s_barrier
	s_cbranch_scc0 .LBB57_77
; %bb.53:
	v_mul_f32_e32 v26, v22, v23
	v_mul_f32_e32 v26, v26, v24
	;; [unrolled: 1-line block ×23, first 2 shown]
	v_add_lshl_u32 v26, v31, v0, 2
	ds_write_b32 v26, v39
	s_waitcnt lgkmcnt(0)
	s_barrier
	s_and_saveexec_b64 s[6:7], vcc
	s_cbranch_execz .LBB57_55
; %bb.54:
	v_lshrrev_b32_e32 v26, 3, v0
	v_add_lshl_u32 v32, v26, v30, 2
	ds_read2_b32 v[26:27], v32 offset1:1
	ds_read2_b32 v[28:29], v32 offset0:2 offset1:3
	v_mbcnt_lo_u32_b32 v33, -1, 0
	v_mbcnt_hi_u32_b32 v33, -1, v33
	v_and_b32_e32 v34, 15, v33
	s_waitcnt lgkmcnt(1)
	v_mul_f32_e32 v35, v26, v27
	s_waitcnt lgkmcnt(0)
	v_mul_f32_e32 v35, v35, v28
	v_mul_f32_e32 v35, v35, v29
	v_cmp_eq_u32_e64 s[4:5], 0, v34
	s_nop 0
	v_mov_b32_dpp v36, v35 row_shr:1 row_mask:0xf bank_mask:0xf
	v_mul_f32_e32 v36, v35, v36
	v_cndmask_b32_e64 v35, v36, v35, s[4:5]
	v_cmp_lt_u32_e64 s[4:5], 1, v34
	s_nop 0
	v_mov_b32_dpp v36, v35 row_shr:2 row_mask:0xf bank_mask:0xf
	v_mul_f32_e32 v36, v35, v36
	v_cndmask_b32_e64 v35, v35, v36, s[4:5]
	v_cmp_lt_u32_e64 s[4:5], 3, v34
	;; [unrolled: 5-line block ×3, first 2 shown]
	s_nop 0
	v_mov_b32_dpp v36, v35 row_shr:8 row_mask:0xf bank_mask:0xf
	v_mul_f32_e32 v36, v35, v36
	v_cndmask_b32_e64 v34, v35, v36, s[4:5]
	v_and_b32_e32 v36, 16, v33
	v_cmp_eq_u32_e64 s[4:5], 0, v36
	v_mov_b32_dpp v35, v34 row_bcast:15 row_mask:0xf bank_mask:0xf
	v_mul_f32_e32 v35, v34, v35
	v_cndmask_b32_e64 v34, v35, v34, s[4:5]
	v_cmp_lt_u32_e64 s[4:5], 31, v33
	v_and_b32_e32 v36, 64, v33
	v_mov_b32_dpp v35, v34 row_bcast:31 row_mask:0xf bank_mask:0xf
	v_mul_f32_e32 v35, v34, v35
	v_cndmask_b32_e64 v34, v34, v35, s[4:5]
	v_add_u32_e32 v35, -1, v33
	v_cmp_lt_i32_e64 s[4:5], v35, v36
	s_nop 1
	v_cndmask_b32_e64 v33, v35, v33, s[4:5]
	v_lshlrev_b32_e32 v33, 2, v33
	ds_bpermute_b32 v33, v33, v34
	v_cmp_eq_u32_e64 s[4:5], 0, v0
	s_waitcnt lgkmcnt(0)
	v_mul_f32_e32 v26, v26, v33
	v_cndmask_b32_e64 v26, v26, v39, s[4:5]
	v_mul_f32_e32 v27, v27, v26
	ds_write2_b32 v32, v26, v27 offset1:1
	v_mul_f32_e32 v26, v28, v27
	v_mul_f32_e32 v27, v29, v26
	ds_write2_b32 v32, v26, v27 offset0:2 offset1:3
.LBB57_55:
	s_or_b64 exec, exec, s[6:7]
	v_cmp_eq_u32_e64 s[6:7], 0, v0
	v_cmp_ne_u32_e64 s[4:5], 0, v0
	s_waitcnt lgkmcnt(0)
	s_barrier
	s_and_saveexec_b64 s[16:17], s[4:5]
	s_cbranch_execz .LBB57_57
; %bb.56:
	v_add_u32_e32 v26, -1, v0
	v_lshrrev_b32_e32 v27, 5, v26
	v_add_lshl_u32 v26, v27, v26, 2
	ds_read_b32 v39, v26
.LBB57_57:
	s_or_b64 exec, exec, s[16:17]
	s_and_saveexec_b64 s[16:17], vcc
	s_cbranch_execz .LBB57_76
; %bb.58:
	v_mov_b32_e32 v35, 0
	ds_read_b32 v26, v35 offset:1048
	v_mbcnt_lo_u32_b32 v27, -1, 0
	v_mbcnt_hi_u32_b32 v29, -1, v27
	s_mov_b32 s21, 0
	v_cmp_eq_u32_e64 s[4:5], 0, v29
	s_and_saveexec_b64 s[18:19], s[4:5]
	s_cbranch_execz .LBB57_60
; %bb.59:
	s_add_i32 s20, s2, 64
	s_lshl_b64 s[20:21], s[20:21], 3
	s_add_u32 s20, s8, s20
	s_addc_u32 s21, s9, s21
	v_mov_b32_e32 v27, 1
	s_waitcnt lgkmcnt(0)
	global_store_dwordx2 v35, v[26:27], s[20:21] sc1
.LBB57_60:
	s_or_b64 exec, exec, s[18:19]
	v_xad_u32 v28, v29, -1, s2
	v_add_u32_e32 v34, 64, v28
	v_lshl_add_u64 v[36:37], v[34:35], 3, s[8:9]
	global_load_dwordx2 v[32:33], v[36:37], off sc1
	s_waitcnt vmcnt(0)
	v_cmp_eq_u16_sdwa s[20:21], v33, v35 src0_sel:BYTE_0 src1_sel:DWORD
	s_and_saveexec_b64 s[18:19], s[20:21]
	s_cbranch_execz .LBB57_64
; %bb.61:
	s_mov_b64 s[20:21], 0
	v_mov_b32_e32 v27, 0
.LBB57_62:                              ; =>This Inner Loop Header: Depth=1
	global_load_dwordx2 v[32:33], v[36:37], off sc1
	s_waitcnt vmcnt(0)
	v_cmp_ne_u16_sdwa s[24:25], v33, v27 src0_sel:BYTE_0 src1_sel:DWORD
	s_or_b64 s[20:21], s[24:25], s[20:21]
	s_andn2_b64 exec, exec, s[20:21]
	s_cbranch_execnz .LBB57_62
; %bb.63:
	s_or_b64 exec, exec, s[20:21]
.LBB57_64:
	s_or_b64 exec, exec, s[18:19]
	v_and_b32_e32 v49, 63, v29
	v_cmp_ne_u32_e32 vcc, 63, v49
	v_mov_b32_e32 v27, 2
	v_cmp_eq_u16_sdwa s[18:19], v33, v27 src0_sel:BYTE_0 src1_sel:DWORD
	v_addc_co_u32_e32 v40, vcc, 0, v29, vcc
	v_lshlrev_b64 v[34:35], v29, -1
	v_lshlrev_b32_e32 v40, 2, v40
	v_and_b32_e32 v36, s19, v35
	ds_bpermute_b32 v42, v40, v32
	v_or_b32_e32 v36, 0x80000000, v36
	v_and_b32_e32 v37, s18, v34
	v_ffbl_b32_e32 v36, v36
	v_add_u32_e32 v36, 32, v36
	v_ffbl_b32_e32 v37, v37
	v_min_u32_e32 v36, v37, v36
	v_add_u32_e32 v41, 1, v29
	s_waitcnt lgkmcnt(0)
	v_mul_f32_e32 v37, v32, v42
	v_cmp_gt_u32_e32 vcc, v41, v36
	v_add_u32_e32 v43, 2, v29
	v_add_u32_e32 v45, 4, v29
	v_cndmask_b32_e32 v32, v37, v32, vcc
	v_cmp_gt_u32_e32 vcc, 62, v49
	v_add_u32_e32 v47, 8, v29
	v_add_u32_e32 v50, 16, v29
	v_cndmask_b32_e64 v37, 0, 1, vcc
	v_lshlrev_b32_e32 v37, 1, v37
	v_add_lshl_u32 v42, v37, v29, 2
	ds_bpermute_b32 v37, v42, v32
	v_cmp_gt_u32_e32 vcc, v43, v36
	v_add_u32_e32 v52, 32, v29
	s_waitcnt lgkmcnt(0)
	v_mul_f32_e32 v37, v32, v37
	v_cndmask_b32_e32 v32, v37, v32, vcc
	v_cmp_gt_u32_e32 vcc, 60, v49
	s_nop 1
	v_cndmask_b32_e64 v37, 0, 1, vcc
	v_lshlrev_b32_e32 v37, 2, v37
	v_add_lshl_u32 v44, v37, v29, 2
	ds_bpermute_b32 v37, v44, v32
	v_cmp_gt_u32_e32 vcc, v45, v36
	s_waitcnt lgkmcnt(0)
	v_mul_f32_e32 v37, v32, v37
	v_cndmask_b32_e32 v32, v37, v32, vcc
	v_cmp_gt_u32_e32 vcc, 56, v49
	s_nop 1
	v_cndmask_b32_e64 v37, 0, 1, vcc
	v_lshlrev_b32_e32 v37, 3, v37
	v_add_lshl_u32 v46, v37, v29, 2
	ds_bpermute_b32 v37, v46, v32
	v_cmp_gt_u32_e32 vcc, v47, v36
	;; [unrolled: 10-line block ×4, first 2 shown]
	s_waitcnt lgkmcnt(0)
	v_mul_f32_e32 v29, v32, v37
	v_cndmask_b32_e32 v32, v29, v32, vcc
	v_mov_b32_e32 v29, 0
	s_branch .LBB57_66
.LBB57_65:                              ;   in Loop: Header=BB57_66 Depth=1
	s_or_b64 exec, exec, s[18:19]
	v_cmp_eq_u16_sdwa s[18:19], v33, v27 src0_sel:BYTE_0 src1_sel:DWORD
	ds_bpermute_b32 v53, v40, v32
	v_subrev_u32_e32 v28, 64, v28
	v_and_b32_e32 v36, s19, v35
	v_or_b32_e32 v36, 0x80000000, v36
	v_and_b32_e32 v37, s18, v34
	v_ffbl_b32_e32 v36, v36
	v_add_u32_e32 v36, 32, v36
	v_ffbl_b32_e32 v37, v37
	v_min_u32_e32 v36, v37, v36
	s_waitcnt lgkmcnt(0)
	v_mul_f32_e32 v37, v32, v53
	v_cmp_gt_u32_e32 vcc, v41, v36
	s_nop 1
	v_cndmask_b32_e32 v32, v37, v32, vcc
	ds_bpermute_b32 v37, v42, v32
	v_cmp_gt_u32_e32 vcc, v43, v36
	s_waitcnt lgkmcnt(0)
	v_mul_f32_e32 v37, v32, v37
	v_cndmask_b32_e32 v32, v37, v32, vcc
	ds_bpermute_b32 v37, v44, v32
	v_cmp_gt_u32_e32 vcc, v45, v36
	s_waitcnt lgkmcnt(0)
	v_mul_f32_e32 v37, v32, v37
	;; [unrolled: 5-line block ×5, first 2 shown]
	v_cndmask_b32_e32 v32, v37, v32, vcc
	v_mul_f32_e32 v32, v49, v32
.LBB57_66:                              ; =>This Loop Header: Depth=1
                                        ;     Child Loop BB57_69 Depth 2
	v_cmp_ne_u16_sdwa s[18:19], v33, v27 src0_sel:BYTE_0 src1_sel:DWORD
	v_mov_b32_e32 v49, v32
	s_nop 0
	v_cndmask_b32_e64 v33, 0, 1, s[18:19]
	;;#ASMSTART
	;;#ASMEND
	s_nop 0
	v_cmp_ne_u32_e32 vcc, 0, v33
	s_cmp_lg_u64 vcc, exec
	s_cbranch_scc1 .LBB57_71
; %bb.67:                               ;   in Loop: Header=BB57_66 Depth=1
	v_lshl_add_u64 v[36:37], v[28:29], 3, s[8:9]
	global_load_dwordx2 v[32:33], v[36:37], off sc1
	s_waitcnt vmcnt(0)
	v_cmp_eq_u16_sdwa s[20:21], v33, v29 src0_sel:BYTE_0 src1_sel:DWORD
	s_and_saveexec_b64 s[18:19], s[20:21]
	s_cbranch_execz .LBB57_65
; %bb.68:                               ;   in Loop: Header=BB57_66 Depth=1
	s_mov_b64 s[20:21], 0
.LBB57_69:                              ;   Parent Loop BB57_66 Depth=1
                                        ; =>  This Inner Loop Header: Depth=2
	global_load_dwordx2 v[32:33], v[36:37], off sc1
	s_waitcnt vmcnt(0)
	v_cmp_ne_u16_sdwa s[24:25], v33, v29 src0_sel:BYTE_0 src1_sel:DWORD
	s_or_b64 s[20:21], s[24:25], s[20:21]
	s_andn2_b64 exec, exec, s[20:21]
	s_cbranch_execnz .LBB57_69
; %bb.70:                               ;   in Loop: Header=BB57_66 Depth=1
	s_or_b64 exec, exec, s[20:21]
	s_branch .LBB57_65
.LBB57_71:                              ;   in Loop: Header=BB57_66 Depth=1
                                        ; implicit-def: $vgpr32
                                        ; implicit-def: $vgpr33
	s_cbranch_execz .LBB57_66
; %bb.72:
	s_and_saveexec_b64 s[18:19], s[4:5]
	s_cbranch_execz .LBB57_74
; %bb.73:
	s_add_i32 s2, s2, 64
	s_mov_b32 s3, 0
	s_lshl_b64 s[2:3], s[2:3], 3
	s_add_u32 s2, s8, s2
	s_addc_u32 s3, s9, s3
	v_mov_b32_e32 v28, 0
	v_mul_f32_e32 v26, v26, v49
	v_mov_b32_e32 v27, 2
	global_store_dwordx2 v28, v[26:27], s[2:3] sc1
.LBB57_74:
	s_or_b64 exec, exec, s[18:19]
	s_and_b64 exec, exec, s[6:7]
	s_cbranch_execz .LBB57_76
; %bb.75:
	v_mov_b32_e32 v26, 0
	ds_write_b32 v26, v49
.LBB57_76:
	s_or_b64 exec, exec, s[16:17]
	v_mov_b32_e32 v26, 0
	s_waitcnt lgkmcnt(0)
	s_barrier
	ds_read_b32 v26, v26
	v_mul_f32_e32 v27, v22, v39
	v_cndmask_b32_e64 v27, v27, v22, s[6:7]
	s_waitcnt lgkmcnt(0)
	v_mul_f32_e32 v26, v27, v26
	s_load_dwordx4 s[4:7], s[0:1], 0x30
	s_branch .LBB57_87
.LBB57_77:
                                        ; implicit-def: $vgpr26
	s_load_dwordx4 s[4:7], s[0:1], 0x30
	s_cbranch_execz .LBB57_87
; %bb.78:
	s_load_dword s16, s[0:1], 0x40
	v_cmp_eq_u32_e32 vcc, 0, v0
	v_cmp_ne_u32_e64 s[2:3], 0, v0
	s_waitcnt lgkmcnt(0)
	s_bitcmp1_b32 s16, 0
	s_cselect_b64 s[16:17], -1, 0
	s_and_b64 s[18:19], vcc, s[16:17]
	s_and_saveexec_b64 s[16:17], s[18:19]
	s_cbranch_execz .LBB57_80
; %bb.79:
	s_load_dword s4, s[4:5], 0x0
	s_waitcnt lgkmcnt(0)
	v_mul_f32_e32 v22, s4, v22
.LBB57_80:
	s_or_b64 exec, exec, s[16:17]
	v_mul_f32_e32 v26, v23, v22
	v_mul_f32_e32 v26, v24, v26
	;; [unrolled: 1-line block ×23, first 2 shown]
	v_add_lshl_u32 v27, v31, v0, 2
	v_cmp_gt_u32_e64 s[4:5], 64, v0
	ds_write_b32 v27, v26
	s_waitcnt lgkmcnt(0)
	s_barrier
	s_and_saveexec_b64 s[16:17], s[4:5]
	s_cbranch_execz .LBB57_82
; %bb.81:
	v_lshrrev_b32_e32 v27, 3, v0
	v_add_lshl_u32 v27, v27, v30, 2
	ds_read2_b32 v[28:29], v27 offset1:1
	ds_read2_b32 v[32:33], v27 offset0:2 offset1:3
	v_mbcnt_lo_u32_b32 v31, -1, 0
	v_mbcnt_hi_u32_b32 v31, -1, v31
	v_and_b32_e32 v34, 15, v31
	s_waitcnt lgkmcnt(1)
	v_mul_f32_e32 v35, v28, v29
	s_waitcnt lgkmcnt(0)
	v_mul_f32_e32 v35, v35, v32
	v_mul_f32_e32 v35, v35, v33
	v_cmp_eq_u32_e64 s[4:5], 0, v34
	s_nop 0
	v_mov_b32_dpp v36, v35 row_shr:1 row_mask:0xf bank_mask:0xf
	v_mul_f32_e32 v36, v35, v36
	v_cndmask_b32_e64 v35, v36, v35, s[4:5]
	v_cmp_lt_u32_e64 s[4:5], 1, v34
	s_nop 0
	v_mov_b32_dpp v36, v35 row_shr:2 row_mask:0xf bank_mask:0xf
	v_mul_f32_e32 v36, v35, v36
	v_cndmask_b32_e64 v35, v35, v36, s[4:5]
	v_cmp_lt_u32_e64 s[4:5], 3, v34
	;; [unrolled: 5-line block ×3, first 2 shown]
	s_nop 0
	v_mov_b32_dpp v36, v35 row_shr:8 row_mask:0xf bank_mask:0xf
	v_mul_f32_e32 v36, v35, v36
	v_cndmask_b32_e64 v34, v35, v36, s[4:5]
	v_and_b32_e32 v36, 16, v31
	v_cmp_eq_u32_e64 s[4:5], 0, v36
	v_mov_b32_dpp v35, v34 row_bcast:15 row_mask:0xf bank_mask:0xf
	v_mul_f32_e32 v35, v34, v35
	v_cndmask_b32_e64 v34, v35, v34, s[4:5]
	v_cmp_lt_u32_e64 s[4:5], 31, v31
	v_and_b32_e32 v36, 64, v31
	v_mov_b32_dpp v35, v34 row_bcast:31 row_mask:0xf bank_mask:0xf
	v_mul_f32_e32 v35, v34, v35
	v_cndmask_b32_e64 v34, v34, v35, s[4:5]
	v_add_u32_e32 v35, -1, v31
	v_cmp_lt_i32_e64 s[4:5], v35, v36
	s_nop 1
	v_cndmask_b32_e64 v31, v35, v31, s[4:5]
	v_lshlrev_b32_e32 v31, 2, v31
	ds_bpermute_b32 v31, v31, v34
	s_waitcnt lgkmcnt(0)
	v_mul_f32_e32 v28, v28, v31
	v_cndmask_b32_e32 v28, v28, v26, vcc
	v_mul_f32_e32 v29, v29, v28
	ds_write2_b32 v27, v28, v29 offset1:1
	v_mul_f32_e32 v28, v32, v29
	v_mul_f32_e32 v29, v33, v28
	ds_write2_b32 v27, v28, v29 offset0:2 offset1:3
.LBB57_82:
	s_or_b64 exec, exec, s[16:17]
	s_waitcnt lgkmcnt(0)
	s_barrier
	s_and_saveexec_b64 s[4:5], s[2:3]
	s_cbranch_execz .LBB57_84
; %bb.83:
	v_add_u32_e32 v26, -1, v0
	v_lshrrev_b32_e32 v27, 5, v26
	v_add_lshl_u32 v26, v27, v26, 2
	ds_read_b32 v26, v26
.LBB57_84:
	s_or_b64 exec, exec, s[4:5]
	s_waitcnt lgkmcnt(0)
	v_mul_f32_e32 v26, v22, v26
	s_and_saveexec_b64 s[2:3], vcc
	s_cbranch_execz .LBB57_86
; %bb.85:
	v_mov_b32_e32 v28, 0
	ds_read_b32 v26, v28 offset:1048
	v_mov_b32_e32 v27, 2
	s_waitcnt lgkmcnt(0)
	global_store_dwordx2 v28, v[26:27], s[8:9] offset:512 sc1
	v_mov_b32_e32 v26, v22
.LBB57_86:
	s_or_b64 exec, exec, s[2:3]
.LBB57_87:
	v_mul_f32_e32 v27, v23, v26
	v_mul_f32_e32 v28, v24, v27
	;; [unrolled: 1-line block ×22, first 2 shown]
	s_add_u32 s2, s10, s14
	v_mul_f32_e32 v5, v5, v4
	s_addc_u32 s3, s11, s15
	s_waitcnt lgkmcnt(0)
	s_mov_b64 s[4:5], -1
	s_and_b64 vcc, exec, s[12:13]
	s_barrier
	s_cbranch_vccz .LBB57_89
; %bb.88:
	v_mov_b32_e32 v31, 0
	ds_write_b128 v1, v[26:29]
	ds_write_b128 v1, v[18:21] offset:16
	ds_write_b128 v1, v[14:17] offset:32
	;; [unrolled: 1-line block ×5, first 2 shown]
	s_waitcnt lgkmcnt(0)
	s_barrier
	ds_read2st64_b32 v[22:23], v30 offset1:4
	ds_read2st64_b32 v[24:25], v30 offset0:8 offset1:12
	ds_read2st64_b32 v[32:33], v30 offset0:16 offset1:20
	;; [unrolled: 1-line block ×11, first 2 shown]
	v_lshl_add_u64 v[54:55], s[2:3], 0, v[30:31]
	s_movk_i32 s4, 0x1000
	s_waitcnt lgkmcnt(11)
	global_store_dword v30, v22, s[2:3]
	global_store_dword v30, v23, s[2:3] offset:1024
	s_waitcnt lgkmcnt(10)
	global_store_dword v30, v24, s[2:3] offset:2048
	global_store_dword v30, v25, s[2:3] offset:3072
	v_add_co_u32_e32 v22, vcc, s4, v54
	s_movk_i32 s4, 0x2000
	s_nop 0
	v_addc_co_u32_e32 v23, vcc, 0, v55, vcc
	v_add_co_u32_e32 v24, vcc, s4, v54
	s_movk_i32 s4, 0x3000
	s_nop 0
	v_addc_co_u32_e32 v25, vcc, 0, v55, vcc
	s_waitcnt lgkmcnt(9)
	global_store_dword v[24:25], v32, off offset:-4096
	global_store_dword v[22:23], v33, off offset:1024
	s_waitcnt lgkmcnt(8)
	global_store_dword v[22:23], v34, off offset:2048
	global_store_dword v[22:23], v35, off offset:3072
	s_waitcnt lgkmcnt(7)
	global_store_dword v[24:25], v36, off
	global_store_dword v[24:25], v37, off offset:1024
	s_waitcnt lgkmcnt(6)
	global_store_dword v[24:25], v40, off offset:2048
	global_store_dword v[24:25], v41, off offset:3072
	v_add_co_u32_e32 v22, vcc, s4, v54
	s_movk_i32 s4, 0x4000
	s_nop 0
	v_addc_co_u32_e32 v23, vcc, 0, v55, vcc
	v_add_co_u32_e32 v24, vcc, s4, v54
	s_mov_b64 s[4:5], 0
	s_nop 0
	v_addc_co_u32_e32 v25, vcc, 0, v55, vcc
	s_waitcnt lgkmcnt(5)
	global_store_dword v[24:25], v42, off offset:-4096
	global_store_dword v[22:23], v43, off offset:1024
	s_waitcnt lgkmcnt(4)
	global_store_dword v[22:23], v44, off offset:2048
	global_store_dword v[22:23], v45, off offset:3072
	s_waitcnt lgkmcnt(3)
	global_store_dword v[24:25], v46, off
	global_store_dword v[24:25], v47, off offset:1024
	s_waitcnt lgkmcnt(2)
	global_store_dword v[24:25], v48, off offset:2048
	global_store_dword v[24:25], v49, off offset:3072
	v_add_co_u32_e32 v22, vcc, 0x5000, v54
	s_nop 1
	v_addc_co_u32_e32 v23, vcc, 0, v55, vcc
	s_waitcnt lgkmcnt(1)
	global_store_dword v[22:23], v50, off
	global_store_dword v[22:23], v51, off offset:1024
	s_waitcnt lgkmcnt(0)
	global_store_dword v[22:23], v52, off offset:2048
	global_store_dword v[22:23], v53, off offset:3072
.LBB57_89:
	s_andn2_b64 vcc, exec, s[4:5]
	s_cbranch_vccnz .LBB57_146
; %bb.90:
	s_movk_i32 s4, 0xffa4
	ds_write_b128 v1, v[26:29]
	ds_write_b128 v1, v[18:21] offset:16
	ds_write_b128 v1, v[14:17] offset:32
	;; [unrolled: 1-line block ×5, first 2 shown]
	v_mad_i32_i24 v1, v0, s4, v1
	s_waitcnt lgkmcnt(0)
	s_barrier
	ds_read2st64_b32 v[2:3], v1 offset1:4
	ds_read2st64_b32 v[4:5], v1 offset0:8 offset1:12
	ds_read2st64_b32 v[6:7], v1 offset0:16 offset1:20
	;; [unrolled: 1-line block ×11, first 2 shown]
	v_mov_b32_e32 v31, 0
	v_lshl_add_u64 v[26:27], s[2:3], 0, v[30:31]
	v_cmp_gt_u32_e32 vcc, s22, v0
	s_and_saveexec_b64 s[2:3], vcc
	s_cbranch_execz .LBB57_92
; %bb.91:
	s_waitcnt lgkmcnt(11)
	global_store_dword v[26:27], v2, off
.LBB57_92:
	s_or_b64 exec, exec, s[2:3]
	v_or_b32_e32 v1, 0x100, v0
	v_cmp_gt_u32_e32 vcc, s22, v1
	s_and_saveexec_b64 s[2:3], vcc
	s_cbranch_execz .LBB57_94
; %bb.93:
	s_waitcnt lgkmcnt(11)
	global_store_dword v[26:27], v3, off offset:1024
.LBB57_94:
	s_or_b64 exec, exec, s[2:3]
	v_or_b32_e32 v1, 0x200, v0
	v_cmp_gt_u32_e32 vcc, s22, v1
	s_and_saveexec_b64 s[2:3], vcc
	s_cbranch_execz .LBB57_96
; %bb.95:
	s_waitcnt lgkmcnt(10)
	global_store_dword v[26:27], v4, off offset:2048
.LBB57_96:
	;; [unrolled: 9-line block ×3, first 2 shown]
	s_or_b64 exec, exec, s[2:3]
	v_or_b32_e32 v1, 0x400, v0
	v_cmp_gt_u32_e32 vcc, s22, v1
	s_and_saveexec_b64 s[2:3], vcc
	s_cbranch_execz .LBB57_100
; %bb.99:
	v_add_co_u32_e32 v28, vcc, 0x1000, v26
	s_nop 1
	v_addc_co_u32_e32 v29, vcc, 0, v27, vcc
	s_waitcnt lgkmcnt(9)
	global_store_dword v[28:29], v6, off
.LBB57_100:
	s_or_b64 exec, exec, s[2:3]
	v_or_b32_e32 v1, 0x500, v0
	v_cmp_gt_u32_e32 vcc, s22, v1
	s_and_saveexec_b64 s[2:3], vcc
	s_cbranch_execz .LBB57_102
; %bb.101:
	v_add_co_u32_e32 v28, vcc, 0x1000, v26
	s_nop 1
	v_addc_co_u32_e32 v29, vcc, 0, v27, vcc
	s_waitcnt lgkmcnt(9)
	global_store_dword v[28:29], v7, off offset:1024
.LBB57_102:
	s_or_b64 exec, exec, s[2:3]
	v_or_b32_e32 v1, 0x600, v0
	v_cmp_gt_u32_e32 vcc, s22, v1
	s_and_saveexec_b64 s[2:3], vcc
	s_cbranch_execz .LBB57_104
; %bb.103:
	v_add_co_u32_e32 v28, vcc, 0x1000, v26
	s_nop 1
	v_addc_co_u32_e32 v29, vcc, 0, v27, vcc
	s_waitcnt lgkmcnt(8)
	global_store_dword v[28:29], v16, off offset:2048
.LBB57_104:
	s_or_b64 exec, exec, s[2:3]
	v_or_b32_e32 v1, 0x700, v0
	v_cmp_gt_u32_e32 vcc, s22, v1
	s_and_saveexec_b64 s[2:3], vcc
	s_cbranch_execz .LBB57_106
; %bb.105:
	v_add_co_u32_e32 v28, vcc, 0x1000, v26
	s_nop 1
	v_addc_co_u32_e32 v29, vcc, 0, v27, vcc
	s_waitcnt lgkmcnt(8)
	global_store_dword v[28:29], v17, off offset:3072
.LBB57_106:
	s_or_b64 exec, exec, s[2:3]
	v_or_b32_e32 v1, 0x800, v0
	v_cmp_gt_u32_e32 vcc, s22, v1
	s_and_saveexec_b64 s[2:3], vcc
	s_cbranch_execz .LBB57_108
; %bb.107:
	v_add_co_u32_e32 v28, vcc, 0x2000, v26
	s_nop 1
	v_addc_co_u32_e32 v29, vcc, 0, v27, vcc
	s_waitcnt lgkmcnt(7)
	global_store_dword v[28:29], v14, off
.LBB57_108:
	s_or_b64 exec, exec, s[2:3]
	v_or_b32_e32 v1, 0x900, v0
	v_cmp_gt_u32_e32 vcc, s22, v1
	s_and_saveexec_b64 s[2:3], vcc
	s_cbranch_execz .LBB57_110
; %bb.109:
	v_add_co_u32_e32 v28, vcc, 0x2000, v26
	s_nop 1
	v_addc_co_u32_e32 v29, vcc, 0, v27, vcc
	s_waitcnt lgkmcnt(7)
	global_store_dword v[28:29], v15, off offset:1024
.LBB57_110:
	s_or_b64 exec, exec, s[2:3]
	v_or_b32_e32 v1, 0xa00, v0
	v_cmp_gt_u32_e32 vcc, s22, v1
	s_and_saveexec_b64 s[2:3], vcc
	s_cbranch_execz .LBB57_112
; %bb.111:
	v_add_co_u32_e32 v28, vcc, 0x2000, v26
	s_nop 1
	v_addc_co_u32_e32 v29, vcc, 0, v27, vcc
	s_waitcnt lgkmcnt(6)
	global_store_dword v[28:29], v18, off offset:2048
.LBB57_112:
	s_or_b64 exec, exec, s[2:3]
	v_or_b32_e32 v1, 0xb00, v0
	v_cmp_gt_u32_e32 vcc, s22, v1
	s_and_saveexec_b64 s[2:3], vcc
	s_cbranch_execz .LBB57_114
; %bb.113:
	v_add_co_u32_e32 v28, vcc, 0x2000, v26
	s_nop 1
	v_addc_co_u32_e32 v29, vcc, 0, v27, vcc
	s_waitcnt lgkmcnt(6)
	global_store_dword v[28:29], v19, off offset:3072
.LBB57_114:
	;; [unrolled: 48-line block ×5, first 2 shown]
	s_or_b64 exec, exec, s[2:3]
	s_load_dword s0, s[0:1], 0x40
	s_waitcnt lgkmcnt(0)
	s_bfe_u32 s0, s0, 0x10008
	s_cmp_eq_u32 s0, 0
	s_cbranch_scc1 .LBB57_146
; %bb.139:
	s_add_u32 s0, s22, -1
	s_addc_u32 s1, s23, -1
	s_add_u32 s2, 0, 0xaaaa0000
	s_addc_u32 s3, 0, 42
	s_add_i32 s3, s3, 0xaaaaa80
	s_mul_hi_u32 s9, s2, 0xffffffe8
	s_sub_i32 s9, s9, s2
	s_mul_i32 s10, s3, 0xffffffe8
	s_mul_i32 s4, s2, 0xffffffe8
	s_add_i32 s9, s9, s10
	s_mul_hi_u32 s5, s3, s4
	s_mul_i32 s8, s3, s4
	s_mul_i32 s11, s2, s9
	s_mul_hi_u32 s4, s2, s4
	s_mul_hi_u32 s10, s2, s9
	s_add_u32 s4, s4, s11
	s_addc_u32 s10, 0, s10
	s_add_u32 s4, s4, s8
	s_mul_hi_u32 s11, s3, s9
	s_addc_u32 s4, s10, s5
	s_addc_u32 s5, s11, 0
	s_mul_i32 s8, s3, s9
	s_add_u32 s4, s4, s8
	v_mov_b32_e32 v26, s4
	s_addc_u32 s5, 0, s5
	v_add_co_u32_e32 v26, vcc, s2, v26
	s_cmp_lg_u64 vcc, 0
	s_addc_u32 s2, s3, s5
	v_readfirstlane_b32 s5, v26
	s_mul_i32 s4, s0, s2
	s_mul_hi_u32 s8, s0, s5
	s_mul_hi_u32 s3, s0, s2
	s_add_u32 s4, s8, s4
	s_addc_u32 s3, 0, s3
	s_mul_hi_u32 s9, s1, s5
	s_mul_i32 s5, s1, s5
	s_add_u32 s4, s4, s5
	s_mul_hi_u32 s8, s1, s2
	s_addc_u32 s3, s3, s9
	s_addc_u32 s4, s8, 0
	s_mul_i32 s2, s1, s2
	s_add_u32 s2, s3, s2
	s_addc_u32 s3, 0, s4
	s_add_u32 s4, s2, 1
	s_addc_u32 s5, s3, 0
	s_add_u32 s8, s2, 2
	s_mul_i32 s10, s3, 24
	s_mul_hi_u32 s11, s2, 24
	s_addc_u32 s9, s3, 0
	s_add_i32 s11, s11, s10
	s_mul_i32 s10, s2, 24
	v_mov_b32_e32 v26, s10
	v_sub_co_u32_e32 v26, vcc, s0, v26
	s_cmp_lg_u64 vcc, 0
	s_subb_u32 s10, s1, s11
	v_subrev_co_u32_e32 v27, vcc, 24, v26
	s_cmp_lg_u64 vcc, 0
	s_subb_u32 s11, s10, 0
	v_readfirstlane_b32 s12, v27
	s_cmp_gt_u32 s12, 23
	s_cselect_b32 s12, -1, 0
	s_cmp_eq_u32 s11, 0
	s_cselect_b32 s11, s12, -1
	s_cmp_lg_u32 s11, 0
	s_cselect_b32 s4, s8, s4
	v_readfirstlane_b32 s8, v26
	s_cselect_b32 s5, s9, s5
	s_cmp_gt_u32 s8, 23
	s_cselect_b32 s8, -1, 0
	s_cmp_eq_u32 s10, 0
	s_cselect_b32 s8, s8, -1
	s_cmp_lg_u32 s8, 0
	v_mov_b32_e32 v1, v31
	s_cselect_b32 s3, s5, s3
	s_cselect_b32 s2, s4, s2
	v_cmp_eq_u64_e32 vcc, s[2:3], v[0:1]
	s_and_saveexec_b64 s[2:3], vcc
	s_cbranch_execz .LBB57_146
; %bb.140:
	v_mul_hi_u32_u24_e32 v1, 24, v0
	v_mov_b32_e32 v26, s1
	v_sub_co_u32_e32 v0, vcc, s0, v38
	s_mov_b64 s[0:1], 0
	s_nop 0
	v_subb_co_u32_e32 v1, vcc, v26, v1, vcc
	v_cmp_lt_i64_e32 vcc, 11, v[0:1]
	s_mov_b64 s[10:11], 0
	s_mov_b64 s[8:9], 0
	;; [unrolled: 1-line block ×3, first 2 shown]
	s_and_saveexec_b64 s[2:3], vcc
	s_xor_b64 s[2:3], exec, s[2:3]
	s_cbranch_execnz .LBB57_147
; %bb.141:
	s_andn2_saveexec_b64 s[2:3], s[2:3]
	s_cbranch_execnz .LBB57_192
.LBB57_142:
	s_or_b64 exec, exec, s[2:3]
	s_and_saveexec_b64 s[2:3], s[10:11]
	s_cbranch_execnz .LBB57_207
.LBB57_143:
	s_or_b64 exec, exec, s[2:3]
	s_and_saveexec_b64 s[2:3], s[8:9]
	s_cbranch_execnz .LBB57_208
.LBB57_144:
	s_or_b64 exec, exec, s[2:3]
	s_and_saveexec_b64 s[2:3], s[4:5]
	s_xor_b64 s[2:3], exec, s[2:3]
	s_cbranch_execnz .LBB57_209
.LBB57_145:
	s_or_b64 exec, exec, s[2:3]
	s_and_b64 exec, exec, s[0:1]
	s_cbranch_execnz .LBB57_210
.LBB57_146:
	s_endpgm
.LBB57_147:
	v_cmp_lt_i64_e32 vcc, 17, v[0:1]
	s_and_saveexec_b64 s[12:13], vcc
	s_xor_b64 s[12:13], exec, s[12:13]
	s_cbranch_execz .LBB57_169
; %bb.148:
	v_cmp_lt_i64_e32 vcc, 20, v[0:1]
                                        ; implicit-def: $vgpr9
	s_and_saveexec_b64 s[14:15], vcc
	s_xor_b64 s[14:15], exec, s[14:15]
	s_cbranch_execz .LBB57_158
; %bb.149:
	v_cmp_lt_i64_e32 vcc, 21, v[0:1]
	s_mov_b64 s[16:17], 0
                                        ; implicit-def: $vgpr9
	s_and_saveexec_b64 s[4:5], vcc
	s_xor_b64 s[4:5], exec, s[4:5]
	s_cbranch_execz .LBB57_155
; %bb.150:
	v_cmp_lt_i64_e32 vcc, 22, v[0:1]
	s_and_saveexec_b64 s[16:17], vcc
	s_xor_b64 s[16:17], exec, s[16:17]
	s_cbranch_execz .LBB57_152
; %bb.151:
	v_mov_b32_e32 v8, 0
	global_store_dword v8, v25, s[6:7]
                                        ; implicit-def: $vgpr24
.LBB57_152:
	s_or_saveexec_b64 s[16:17], s[16:17]
	s_mov_b64 s[18:19], 0
	s_xor_b64 exec, exec, s[16:17]
; %bb.153:
	s_mov_b64 s[18:19], exec
; %bb.154:
	s_or_b64 exec, exec, s[16:17]
	s_and_b64 s[16:17], s[18:19], exec
	v_mov_b32_e32 v9, v24
                                        ; implicit-def: $vgpr11
.LBB57_155:
	s_andn2_saveexec_b64 s[4:5], s[4:5]
; %bb.156:
	s_mov_b64 s[8:9], exec
                                        ; implicit-def: $vgpr9
; %bb.157:
	s_or_b64 exec, exec, s[4:5]
	s_and_b64 s[4:5], s[16:17], exec
	s_and_b64 s[8:9], s[8:9], exec
                                        ; implicit-def: $vgpr20_vgpr21
.LBB57_158:
	s_andn2_saveexec_b64 s[14:15], s[14:15]
	s_cbranch_execz .LBB57_168
; %bb.159:
	v_cmp_lt_i64_e32 vcc, 18, v[0:1]
	s_mov_b64 s[16:17], 0
	s_and_saveexec_b64 s[10:11], vcc
	s_xor_b64 s[10:11], exec, s[10:11]
	s_cbranch_execz .LBB57_165
; %bb.160:
	v_cmp_lt_i64_e32 vcc, 19, v[0:1]
	s_and_saveexec_b64 s[18:19], vcc
	s_xor_b64 s[18:19], exec, s[18:19]
; %bb.161:
	s_mov_b64 s[16:17], exec
                                        ; implicit-def: $vgpr20_vgpr21
; %bb.162:
	s_andn2_saveexec_b64 s[18:19], s[18:19]
	s_cbranch_execz .LBB57_164
; %bb.163:
	v_mov_b32_e32 v8, 0
	global_store_dword v8, v21, s[6:7]
                                        ; implicit-def: $vgpr10
.LBB57_164:
	s_or_b64 exec, exec, s[18:19]
	s_and_b64 s[16:17], s[16:17], exec
                                        ; implicit-def: $vgpr20_vgpr21
.LBB57_165:
	s_andn2_saveexec_b64 s[10:11], s[10:11]
	s_cbranch_execz .LBB57_167
; %bb.166:
	v_mov_b32_e32 v8, 0
	global_store_dword v8, v20, s[6:7]
                                        ; implicit-def: $vgpr10
.LBB57_167:
	s_or_b64 exec, exec, s[10:11]
	s_and_b64 s[10:11], s[16:17], exec
                                        ; implicit-def: $vgpr9
.LBB57_168:
	s_or_b64 exec, exec, s[14:15]
	s_and_b64 s[4:5], s[4:5], exec
	s_and_b64 s[8:9], s[8:9], exec
	;; [unrolled: 1-line block ×3, first 2 shown]
                                        ; implicit-def: $vgpr12
                                        ; implicit-def: $vgpr22_vgpr23
.LBB57_169:
	s_andn2_saveexec_b64 s[12:13], s[12:13]
	s_cbranch_execz .LBB57_191
; %bb.170:
	v_cmp_lt_i64_e32 vcc, 14, v[0:1]
	s_mov_b64 s[14:15], s[4:5]
	s_and_saveexec_b64 s[16:17], vcc
	s_xor_b64 s[16:17], exec, s[16:17]
	s_cbranch_execz .LBB57_180
; %bb.171:
	v_cmp_lt_i64_e32 vcc, 15, v[0:1]
	s_and_saveexec_b64 s[14:15], vcc
	s_xor_b64 s[14:15], exec, s[14:15]
	s_cbranch_execz .LBB57_177
; %bb.172:
	v_cmp_lt_i64_e32 vcc, 16, v[0:1]
	s_and_saveexec_b64 s[18:19], vcc
	s_xor_b64 s[18:19], exec, s[18:19]
	s_cbranch_execz .LBB57_174
; %bb.173:
	v_mov_b32_e32 v8, 0
	global_store_dword v8, v23, s[6:7]
                                        ; implicit-def: $vgpr22_vgpr23
.LBB57_174:
	s_andn2_saveexec_b64 s[18:19], s[18:19]
	s_cbranch_execz .LBB57_176
; %bb.175:
	v_mov_b32_e32 v8, 0
	global_store_dword v8, v22, s[6:7]
.LBB57_176:
	s_or_b64 exec, exec, s[18:19]
                                        ; implicit-def: $vgpr9
.LBB57_177:
	s_or_saveexec_b64 s[14:15], s[14:15]
	s_mov_b64 s[18:19], s[4:5]
	s_xor_b64 exec, exec, s[14:15]
; %bb.178:
	s_or_b64 s[18:19], s[4:5], exec
; %bb.179:
	s_or_b64 exec, exec, s[14:15]
	s_andn2_b64 s[14:15], s[4:5], exec
	s_and_b64 s[18:19], s[18:19], exec
	s_or_b64 s[14:15], s[14:15], s[18:19]
                                        ; implicit-def: $vgpr12
.LBB57_180:
	s_or_saveexec_b64 s[16:17], s[16:17]
	s_mov_b64 s[18:19], s[8:9]
                                        ; implicit-def: $vgpr11
	s_xor_b64 exec, exec, s[16:17]
	s_cbranch_execz .LBB57_190
; %bb.181:
	v_cmp_lt_i64_e32 vcc, 12, v[0:1]
	s_mov_b64 s[20:21], s[8:9]
	s_mov_b64 s[22:23], s[14:15]
                                        ; implicit-def: $vgpr11
	s_and_saveexec_b64 s[18:19], vcc
	s_xor_b64 s[18:19], exec, s[18:19]
	s_cbranch_execz .LBB57_187
; %bb.182:
	v_cmp_lt_i64_e32 vcc, 13, v[0:1]
	s_mov_b64 s[20:21], s[14:15]
	s_and_saveexec_b64 s[22:23], vcc
	s_xor_b64 s[22:23], exec, s[22:23]
; %bb.183:
	s_or_b64 s[20:21], s[14:15], exec
                                        ; implicit-def: $vgpr13
; %bb.184:
	s_or_saveexec_b64 s[22:23], s[22:23]
	s_mov_b64 s[24:25], s[8:9]
	s_xor_b64 exec, exec, s[22:23]
; %bb.185:
	s_or_b64 s[24:25], s[8:9], exec
                                        ; implicit-def: $vgpr8
; %bb.186:
	s_or_b64 exec, exec, s[22:23]
	s_andn2_b64 s[22:23], s[14:15], exec
	s_and_b64 s[20:21], s[20:21], exec
	s_or_b64 s[22:23], s[22:23], s[20:21]
	s_andn2_b64 s[20:21], s[8:9], exec
	s_and_b64 s[24:25], s[24:25], exec
	s_or_b64 s[20:21], s[20:21], s[24:25]
	v_mov_b32_e32 v9, v8
	v_mov_b32_e32 v11, v13
                                        ; implicit-def: $vgpr12
.LBB57_187:
	s_andn2_saveexec_b64 s[18:19], s[18:19]
; %bb.188:
	s_or_b64 s[20:21], s[20:21], exec
                                        ; implicit-def: $vgpr9
	v_mov_b32_e32 v11, v12
; %bb.189:
	s_or_b64 exec, exec, s[18:19]
	s_andn2_b64 s[14:15], s[14:15], exec
	s_and_b64 s[18:19], s[22:23], exec
	s_or_b64 s[14:15], s[14:15], s[18:19]
	s_andn2_b64 s[18:19], s[8:9], exec
	s_and_b64 s[20:21], s[20:21], exec
	s_or_b64 s[18:19], s[18:19], s[20:21]
.LBB57_190:
	s_or_b64 exec, exec, s[16:17]
	s_andn2_b64 s[4:5], s[4:5], exec
	s_and_b64 s[14:15], s[14:15], exec
	s_or_b64 s[4:5], s[4:5], s[14:15]
	s_andn2_b64 s[8:9], s[8:9], exec
	s_and_b64 s[14:15], s[18:19], exec
	s_or_b64 s[8:9], s[8:9], s[14:15]
.LBB57_191:
	s_or_b64 exec, exec, s[12:13]
	s_and_b64 s[4:5], s[4:5], exec
	s_and_b64 s[8:9], s[8:9], exec
	s_and_b64 s[10:11], s[10:11], exec
                                        ; implicit-def: $vgpr16
                                        ; implicit-def: $vgpr14
                                        ; implicit-def: $vgpr18
	s_andn2_saveexec_b64 s[2:3], s[2:3]
	s_cbranch_execz .LBB57_142
.LBB57_192:
	v_cmp_lt_i64_e32 vcc, 5, v[0:1]
	s_mov_b64 s[14:15], -1
	s_mov_b64 s[12:13], s[10:11]
	s_mov_b64 s[16:17], s[8:9]
	;; [unrolled: 1-line block ×3, first 2 shown]
                                        ; implicit-def: $vgpr9
                                        ; implicit-def: $vgpr11
	s_and_saveexec_b64 s[0:1], vcc
	s_cbranch_execz .LBB57_206
; %bb.193:
	v_cmp_lt_i64_e32 vcc, 8, v[0:1]
	s_mov_b64 s[12:13], s[10:11]
                                        ; implicit-def: $vgpr10
	s_and_saveexec_b64 s[14:15], vcc
	s_xor_b64 s[14:15], exec, s[14:15]
	s_cbranch_execz .LBB57_201
; %bb.194:
	v_cmp_lt_i64_e32 vcc, 9, v[0:1]
	s_and_saveexec_b64 s[12:13], vcc
	s_xor_b64 s[12:13], exec, s[12:13]
	s_cbranch_execz .LBB57_198
; %bb.195:
	v_cmp_lt_i64_e32 vcc, 10, v[0:1]
	s_and_saveexec_b64 s[16:17], vcc
	s_xor_b64 s[16:17], exec, s[16:17]
	s_andn2_saveexec_b64 s[16:17], s[16:17]
; %bb.196:
	v_mov_b32_e32 v19, v18
; %bb.197:
	s_or_b64 exec, exec, s[16:17]
                                        ; implicit-def: $vgpr15
.LBB57_198:
	s_andn2_saveexec_b64 s[12:13], s[12:13]
; %bb.199:
	v_mov_b32_e32 v19, v15
; %bb.200:
	s_or_b64 exec, exec, s[12:13]
	s_or_b64 s[12:13], s[10:11], exec
	v_mov_b32_e32 v10, v19
                                        ; implicit-def: $vgpr16
                                        ; implicit-def: $vgpr14
.LBB57_201:
	s_or_saveexec_b64 s[14:15], s[14:15]
	s_mov_b64 s[16:17], s[8:9]
	s_mov_b64 s[20:21], s[4:5]
                                        ; implicit-def: $vgpr9
	s_xor_b64 exec, exec, s[14:15]
	s_cbranch_execz .LBB57_205
; %bb.202:
	v_cmp_lt_i64_e32 vcc, 6, v[0:1]
	s_mov_b64 s[20:21], -1
	s_mov_b64 s[18:19], s[12:13]
	s_mov_b64 s[16:17], s[8:9]
	s_and_saveexec_b64 s[22:23], vcc
; %bb.203:
	v_cmp_lt_i64_e32 vcc, 7, v[0:1]
	s_andn2_b64 s[18:19], s[12:13], exec
	s_and_b64 s[24:25], vcc, exec
	s_xor_b64 s[20:21], exec, -1
	s_or_b64 s[16:17], s[8:9], exec
	s_or_b64 s[18:19], s[18:19], s[24:25]
; %bb.204:
	s_or_b64 exec, exec, s[22:23]
	s_andn2_b64 s[22:23], s[4:5], exec
	s_and_b64 s[20:21], s[20:21], exec
	s_or_b64 s[20:21], s[22:23], s[20:21]
	s_andn2_b64 s[22:23], s[8:9], exec
	s_and_b64 s[16:17], s[16:17], exec
	s_andn2_b64 s[12:13], s[12:13], exec
	s_and_b64 s[18:19], s[18:19], exec
	s_or_b64 s[16:17], s[22:23], s[16:17]
	s_or_b64 s[12:13], s[12:13], s[18:19]
	v_mov_b32_e32 v9, v16
	v_mov_b32_e32 v11, v17
	;; [unrolled: 1-line block ×3, first 2 shown]
.LBB57_205:
	s_or_b64 exec, exec, s[14:15]
	s_andn2_b64 s[18:19], s[4:5], exec
	s_and_b64 s[20:21], s[20:21], exec
	s_or_b64 s[18:19], s[18:19], s[20:21]
	s_andn2_b64 s[20:21], s[8:9], exec
	s_and_b64 s[16:17], s[16:17], exec
	s_or_b64 s[16:17], s[20:21], s[16:17]
	s_andn2_b64 s[20:21], s[10:11], exec
	s_and_b64 s[12:13], s[12:13], exec
	s_xor_b64 s[14:15], exec, -1
	s_or_b64 s[12:13], s[20:21], s[12:13]
.LBB57_206:
	s_or_b64 exec, exec, s[0:1]
	s_and_b64 s[0:1], s[14:15], exec
	s_andn2_b64 s[4:5], s[4:5], exec
	s_and_b64 s[14:15], s[18:19], exec
	s_or_b64 s[4:5], s[4:5], s[14:15]
	s_andn2_b64 s[8:9], s[8:9], exec
	s_and_b64 s[14:15], s[16:17], exec
	s_andn2_b64 s[10:11], s[10:11], exec
	s_and_b64 s[12:13], s[12:13], exec
	s_or_b64 s[8:9], s[8:9], s[14:15]
	s_or_b64 s[10:11], s[10:11], s[12:13]
	s_or_b64 exec, exec, s[2:3]
	s_and_saveexec_b64 s[2:3], s[10:11]
	s_cbranch_execz .LBB57_143
.LBB57_207:
	v_mov_b32_e32 v8, 0
	s_andn2_b64 s[8:9], s[8:9], exec
	global_store_dword v8, v10, s[6:7]
                                        ; implicit-def: $vgpr9
                                        ; implicit-def: $vgpr11
	s_or_b64 exec, exec, s[2:3]
	s_and_saveexec_b64 s[2:3], s[8:9]
	s_cbranch_execz .LBB57_144
.LBB57_208:
	v_mov_b32_e32 v8, 0
	global_store_dword v8, v11, s[6:7]
                                        ; implicit-def: $vgpr9
	s_or_b64 exec, exec, s[2:3]
	s_and_saveexec_b64 s[2:3], s[4:5]
	s_xor_b64 s[2:3], exec, s[2:3]
	s_cbranch_execz .LBB57_145
.LBB57_209:
	v_mov_b32_e32 v8, 0
	global_store_dword v8, v9, s[6:7]
	s_or_b64 exec, exec, s[2:3]
	s_and_b64 exec, exec, s[0:1]
	s_cbranch_execz .LBB57_146
.LBB57_210:
	v_cmp_lt_i64_e32 vcc, 2, v[0:1]
	s_and_saveexec_b64 s[0:1], vcc
	s_xor_b64 s[0:1], exec, s[0:1]
	s_cbranch_execz .LBB57_220
; %bb.211:
	v_cmp_lt_i64_e32 vcc, 3, v[0:1]
	s_and_saveexec_b64 s[2:3], vcc
	s_xor_b64 s[2:3], exec, s[2:3]
	s_cbranch_execz .LBB57_217
; %bb.212:
	v_cmp_lt_i64_e32 vcc, 4, v[0:1]
	s_and_saveexec_b64 s[4:5], vcc
	s_xor_b64 s[4:5], exec, s[4:5]
	s_cbranch_execz .LBB57_214
; %bb.213:
	v_mov_b32_e32 v0, 0
	global_store_dword v0, v7, s[6:7]
                                        ; implicit-def: $vgpr6_vgpr7
.LBB57_214:
	s_andn2_saveexec_b64 s[4:5], s[4:5]
	s_cbranch_execz .LBB57_216
; %bb.215:
	v_mov_b32_e32 v0, 0
	global_store_dword v0, v6, s[6:7]
.LBB57_216:
	s_or_b64 exec, exec, s[4:5]
                                        ; implicit-def: $vgpr4_vgpr5
.LBB57_217:
	s_andn2_saveexec_b64 s[2:3], s[2:3]
	s_cbranch_execz .LBB57_219
; %bb.218:
	v_mov_b32_e32 v0, 0
	global_store_dword v0, v5, s[6:7]
.LBB57_219:
	s_or_b64 exec, exec, s[2:3]
                                        ; implicit-def: $vgpr0_vgpr1
                                        ; implicit-def: $vgpr4_vgpr5
                                        ; implicit-def: $vgpr2_vgpr3
.LBB57_220:
	s_andn2_saveexec_b64 s[0:1], s[0:1]
	s_cbranch_execz .LBB57_146
; %bb.221:
	v_cmp_lt_i64_e32 vcc, 1, v[0:1]
	s_and_saveexec_b64 s[0:1], vcc
	s_xor_b64 s[0:1], exec, s[0:1]
	s_cbranch_execz .LBB57_223
; %bb.222:
	v_mov_b32_e32 v0, 0
	global_store_dword v0, v4, s[6:7]
                                        ; implicit-def: $vgpr2_vgpr3
                                        ; implicit-def: $vgpr0_vgpr1
.LBB57_223:
	s_andn2_saveexec_b64 s[0:1], s[0:1]
	s_cbranch_execz .LBB57_146
; %bb.224:
	v_cmp_ne_u64_e32 vcc, 1, v[0:1]
	s_and_saveexec_b64 s[0:1], vcc
	s_xor_b64 s[0:1], exec, s[0:1]
	s_cbranch_execz .LBB57_226
; %bb.225:
	v_mov_b32_e32 v0, 0
	global_store_dword v0, v2, s[6:7]
                                        ; implicit-def: $vgpr2_vgpr3
.LBB57_226:
	s_andn2_saveexec_b64 s[0:1], s[0:1]
	s_cbranch_execz .LBB57_146
; %bb.227:
	v_mov_b32_e32 v0, 0
	global_store_dword v0, v3, s[6:7]
	s_endpgm
	.section	.rodata,"a",@progbits
	.p2align	6, 0x0
	.amdhsa_kernel _ZN7rocprim17ROCPRIM_304000_NS6detail20lookback_scan_kernelILNS1_25lookback_scan_determinismE0ELb0ENS1_19wrapped_scan_configINS0_14default_configEfEEPKfPfSt10multipliesIfEffNS1_19lookback_scan_stateIfLb0ELb1EEEEEvT2_T3_mT5_T4_T7_jPT6_SK_bb
		.amdhsa_group_segment_fixed_size 24576
		.amdhsa_private_segment_fixed_size 0
		.amdhsa_kernarg_size 68
		.amdhsa_user_sgpr_count 2
		.amdhsa_user_sgpr_dispatch_ptr 0
		.amdhsa_user_sgpr_queue_ptr 0
		.amdhsa_user_sgpr_kernarg_segment_ptr 1
		.amdhsa_user_sgpr_dispatch_id 0
		.amdhsa_user_sgpr_kernarg_preload_length 0
		.amdhsa_user_sgpr_kernarg_preload_offset 0
		.amdhsa_user_sgpr_private_segment_size 0
		.amdhsa_uses_dynamic_stack 0
		.amdhsa_enable_private_segment 0
		.amdhsa_system_sgpr_workgroup_id_x 1
		.amdhsa_system_sgpr_workgroup_id_y 0
		.amdhsa_system_sgpr_workgroup_id_z 0
		.amdhsa_system_sgpr_workgroup_info 0
		.amdhsa_system_vgpr_workitem_id 0
		.amdhsa_next_free_vgpr 56
		.amdhsa_next_free_sgpr 26
		.amdhsa_accum_offset 56
		.amdhsa_reserve_vcc 1
		.amdhsa_float_round_mode_32 0
		.amdhsa_float_round_mode_16_64 0
		.amdhsa_float_denorm_mode_32 3
		.amdhsa_float_denorm_mode_16_64 3
		.amdhsa_dx10_clamp 1
		.amdhsa_ieee_mode 1
		.amdhsa_fp16_overflow 0
		.amdhsa_tg_split 0
		.amdhsa_exception_fp_ieee_invalid_op 0
		.amdhsa_exception_fp_denorm_src 0
		.amdhsa_exception_fp_ieee_div_zero 0
		.amdhsa_exception_fp_ieee_overflow 0
		.amdhsa_exception_fp_ieee_underflow 0
		.amdhsa_exception_fp_ieee_inexact 0
		.amdhsa_exception_int_div_zero 0
	.end_amdhsa_kernel
	.section	.text._ZN7rocprim17ROCPRIM_304000_NS6detail20lookback_scan_kernelILNS1_25lookback_scan_determinismE0ELb0ENS1_19wrapped_scan_configINS0_14default_configEfEEPKfPfSt10multipliesIfEffNS1_19lookback_scan_stateIfLb0ELb1EEEEEvT2_T3_mT5_T4_T7_jPT6_SK_bb,"axG",@progbits,_ZN7rocprim17ROCPRIM_304000_NS6detail20lookback_scan_kernelILNS1_25lookback_scan_determinismE0ELb0ENS1_19wrapped_scan_configINS0_14default_configEfEEPKfPfSt10multipliesIfEffNS1_19lookback_scan_stateIfLb0ELb1EEEEEvT2_T3_mT5_T4_T7_jPT6_SK_bb,comdat
.Lfunc_end57:
	.size	_ZN7rocprim17ROCPRIM_304000_NS6detail20lookback_scan_kernelILNS1_25lookback_scan_determinismE0ELb0ENS1_19wrapped_scan_configINS0_14default_configEfEEPKfPfSt10multipliesIfEffNS1_19lookback_scan_stateIfLb0ELb1EEEEEvT2_T3_mT5_T4_T7_jPT6_SK_bb, .Lfunc_end57-_ZN7rocprim17ROCPRIM_304000_NS6detail20lookback_scan_kernelILNS1_25lookback_scan_determinismE0ELb0ENS1_19wrapped_scan_configINS0_14default_configEfEEPKfPfSt10multipliesIfEffNS1_19lookback_scan_stateIfLb0ELb1EEEEEvT2_T3_mT5_T4_T7_jPT6_SK_bb
                                        ; -- End function
	.section	.AMDGPU.csdata,"",@progbits
; Kernel info:
; codeLenInByte = 7764
; NumSgprs: 32
; NumVgprs: 56
; NumAgprs: 0
; TotalNumVgprs: 56
; ScratchSize: 0
; MemoryBound: 0
; FloatMode: 240
; IeeeMode: 1
; LDSByteSize: 24576 bytes/workgroup (compile time only)
; SGPRBlocks: 3
; VGPRBlocks: 6
; NumSGPRsForWavesPerEU: 32
; NumVGPRsForWavesPerEU: 56
; AccumOffset: 56
; Occupancy: 2
; WaveLimiterHint : 1
; COMPUTE_PGM_RSRC2:SCRATCH_EN: 0
; COMPUTE_PGM_RSRC2:USER_SGPR: 2
; COMPUTE_PGM_RSRC2:TRAP_HANDLER: 0
; COMPUTE_PGM_RSRC2:TGID_X_EN: 1
; COMPUTE_PGM_RSRC2:TGID_Y_EN: 0
; COMPUTE_PGM_RSRC2:TGID_Z_EN: 0
; COMPUTE_PGM_RSRC2:TIDIG_COMP_CNT: 0
; COMPUTE_PGM_RSRC3_GFX90A:ACCUM_OFFSET: 13
; COMPUTE_PGM_RSRC3_GFX90A:TG_SPLIT: 0
	.section	.text._ZN7rocprim17ROCPRIM_304000_NS6detail16transform_kernelINS1_24wrapped_transform_configINS0_14default_configEfEEfPfS6_NS0_8identityIfEEEEvT1_mT2_T3_,"axG",@progbits,_ZN7rocprim17ROCPRIM_304000_NS6detail16transform_kernelINS1_24wrapped_transform_configINS0_14default_configEfEEfPfS6_NS0_8identityIfEEEEvT1_mT2_T3_,comdat
	.protected	_ZN7rocprim17ROCPRIM_304000_NS6detail16transform_kernelINS1_24wrapped_transform_configINS0_14default_configEfEEfPfS6_NS0_8identityIfEEEEvT1_mT2_T3_ ; -- Begin function _ZN7rocprim17ROCPRIM_304000_NS6detail16transform_kernelINS1_24wrapped_transform_configINS0_14default_configEfEEfPfS6_NS0_8identityIfEEEEvT1_mT2_T3_
	.globl	_ZN7rocprim17ROCPRIM_304000_NS6detail16transform_kernelINS1_24wrapped_transform_configINS0_14default_configEfEEfPfS6_NS0_8identityIfEEEEvT1_mT2_T3_
	.p2align	8
	.type	_ZN7rocprim17ROCPRIM_304000_NS6detail16transform_kernelINS1_24wrapped_transform_configINS0_14default_configEfEEfPfS6_NS0_8identityIfEEEEvT1_mT2_T3_,@function
_ZN7rocprim17ROCPRIM_304000_NS6detail16transform_kernelINS1_24wrapped_transform_configINS0_14default_configEfEEfPfS6_NS0_8identityIfEEEEvT1_mT2_T3_: ; @_ZN7rocprim17ROCPRIM_304000_NS6detail16transform_kernelINS1_24wrapped_transform_configINS0_14default_configEfEEfPfS6_NS0_8identityIfEEEEvT1_mT2_T3_
; %bb.0:
	s_load_dword s3, s[0:1], 0x20
	s_load_dwordx4 s[4:7], s[0:1], 0x0
	s_load_dwordx2 s[8:9], s[0:1], 0x10
	s_lshl_b32 s0, s2, 10
	s_mov_b32 s1, 0
	s_waitcnt lgkmcnt(0)
	s_add_i32 s3, s3, -1
	s_lshl_b64 s[10:11], s[0:1], 2
	s_add_u32 s4, s4, s10
	s_addc_u32 s5, s5, s11
	v_mov_b32_e32 v7, 0
	v_lshlrev_b32_e32 v6, 2, v0
	s_cmp_lg_u32 s2, s3
	v_lshl_add_u64 v[8:9], s[4:5], 0, v[6:7]
	s_cbranch_scc0 .LBB58_2
; %bb.1:
	global_load_dword v2, v[8:9], off
	global_load_dword v3, v[8:9], off offset:1024
	global_load_dword v4, v[8:9], off offset:2048
	;; [unrolled: 1-line block ×3, first 2 shown]
	s_add_u32 s4, s8, s10
	s_addc_u32 s5, s9, s11
	s_mov_b64 s[12:13], -1
	s_waitcnt vmcnt(3)
	global_store_dword v6, v2, s[4:5]
	s_waitcnt vmcnt(3)
	global_store_dword v6, v3, s[4:5] offset:1024
	s_waitcnt vmcnt(3)
	global_store_dword v6, v4, s[4:5] offset:2048
	s_cbranch_execz .LBB58_3
	s_branch .LBB58_17
.LBB58_2:
	s_mov_b64 s[12:13], 0
                                        ; implicit-def: $vgpr1
.LBB58_3:
	s_sub_i32 s6, s6, s0
	v_cmp_gt_u32_e32 vcc, s6, v0
                                        ; implicit-def: $vgpr2_vgpr3_vgpr4_vgpr5
	s_and_saveexec_b64 s[0:1], vcc
	s_cbranch_execz .LBB58_5
; %bb.4:
	global_load_dword v2, v[8:9], off
.LBB58_5:
	s_or_b64 exec, exec, s[0:1]
	s_waitcnt vmcnt(3)
	v_or_b32_e32 v1, 0x100, v0
	v_cmp_gt_u32_e64 s[0:1], s6, v1
	s_and_saveexec_b64 s[2:3], s[0:1]
	s_cbranch_execz .LBB58_7
; %bb.6:
	global_load_dword v3, v[8:9], off offset:1024
.LBB58_7:
	s_or_b64 exec, exec, s[2:3]
	v_or_b32_e32 v1, 0x200, v0
	v_cmp_gt_u32_e64 s[2:3], s6, v1
	s_and_saveexec_b64 s[4:5], s[2:3]
	s_cbranch_execz .LBB58_9
; %bb.8:
	global_load_dword v4, v[8:9], off offset:2048
.LBB58_9:
	s_or_b64 exec, exec, s[4:5]
	;; [unrolled: 8-line block ×3, first 2 shown]
	s_add_u32 s6, s8, s10
	s_addc_u32 s7, s9, s11
	v_mov_b32_e32 v7, 0
	v_lshl_add_u64 v[0:1], s[6:7], 0, v[6:7]
	s_and_saveexec_b64 s[6:7], vcc
	s_cbranch_execnz .LBB58_20
; %bb.12:
	s_or_b64 exec, exec, s[6:7]
	s_and_saveexec_b64 s[6:7], s[0:1]
	s_cbranch_execnz .LBB58_21
.LBB58_13:
	s_or_b64 exec, exec, s[6:7]
	s_and_saveexec_b64 s[0:1], s[2:3]
	s_cbranch_execnz .LBB58_22
.LBB58_14:
	s_or_b64 exec, exec, s[0:1]
                                        ; implicit-def: $vgpr1
	s_and_saveexec_b64 s[0:1], s[4:5]
	s_cbranch_execz .LBB58_16
.LBB58_15:
	s_waitcnt vmcnt(0)
	v_cndmask_b32_e64 v1, v5, v5, s[4:5]
	s_or_b64 s[12:13], s[12:13], exec
.LBB58_16:
	s_or_b64 exec, exec, s[0:1]
.LBB58_17:
	s_and_saveexec_b64 s[0:1], s[12:13]
	s_cbranch_execnz .LBB58_19
; %bb.18:
	s_endpgm
.LBB58_19:
	s_add_u32 s0, s8, s10
	s_addc_u32 s1, s9, s11
	s_waitcnt vmcnt(3)
	global_store_dword v6, v1, s[0:1] offset:3072
	s_endpgm
.LBB58_20:
	s_waitcnt vmcnt(0)
	global_store_dword v[0:1], v2, off
	s_or_b64 exec, exec, s[6:7]
	s_and_saveexec_b64 s[6:7], s[0:1]
	s_cbranch_execz .LBB58_13
.LBB58_21:
	s_waitcnt vmcnt(0)
	global_store_dword v[0:1], v3, off offset:1024
	s_or_b64 exec, exec, s[6:7]
	s_and_saveexec_b64 s[0:1], s[2:3]
	s_cbranch_execz .LBB58_14
.LBB58_22:
	s_waitcnt vmcnt(0)
	v_cndmask_b32_e64 v2, v4, v4, s[2:3]
	global_store_dword v[0:1], v2, off offset:2048
	s_or_b64 exec, exec, s[0:1]
                                        ; implicit-def: $vgpr1
	s_and_saveexec_b64 s[0:1], s[4:5]
	s_cbranch_execnz .LBB58_15
	s_branch .LBB58_16
	.section	.rodata,"a",@progbits
	.p2align	6, 0x0
	.amdhsa_kernel _ZN7rocprim17ROCPRIM_304000_NS6detail16transform_kernelINS1_24wrapped_transform_configINS0_14default_configEfEEfPfS6_NS0_8identityIfEEEEvT1_mT2_T3_
		.amdhsa_group_segment_fixed_size 0
		.amdhsa_private_segment_fixed_size 0
		.amdhsa_kernarg_size 288
		.amdhsa_user_sgpr_count 2
		.amdhsa_user_sgpr_dispatch_ptr 0
		.amdhsa_user_sgpr_queue_ptr 0
		.amdhsa_user_sgpr_kernarg_segment_ptr 1
		.amdhsa_user_sgpr_dispatch_id 0
		.amdhsa_user_sgpr_kernarg_preload_length 0
		.amdhsa_user_sgpr_kernarg_preload_offset 0
		.amdhsa_user_sgpr_private_segment_size 0
		.amdhsa_uses_dynamic_stack 0
		.amdhsa_enable_private_segment 0
		.amdhsa_system_sgpr_workgroup_id_x 1
		.amdhsa_system_sgpr_workgroup_id_y 0
		.amdhsa_system_sgpr_workgroup_id_z 0
		.amdhsa_system_sgpr_workgroup_info 0
		.amdhsa_system_vgpr_workitem_id 0
		.amdhsa_next_free_vgpr 10
		.amdhsa_next_free_sgpr 14
		.amdhsa_accum_offset 12
		.amdhsa_reserve_vcc 1
		.amdhsa_float_round_mode_32 0
		.amdhsa_float_round_mode_16_64 0
		.amdhsa_float_denorm_mode_32 3
		.amdhsa_float_denorm_mode_16_64 3
		.amdhsa_dx10_clamp 1
		.amdhsa_ieee_mode 1
		.amdhsa_fp16_overflow 0
		.amdhsa_tg_split 0
		.amdhsa_exception_fp_ieee_invalid_op 0
		.amdhsa_exception_fp_denorm_src 0
		.amdhsa_exception_fp_ieee_div_zero 0
		.amdhsa_exception_fp_ieee_overflow 0
		.amdhsa_exception_fp_ieee_underflow 0
		.amdhsa_exception_fp_ieee_inexact 0
		.amdhsa_exception_int_div_zero 0
	.end_amdhsa_kernel
	.section	.text._ZN7rocprim17ROCPRIM_304000_NS6detail16transform_kernelINS1_24wrapped_transform_configINS0_14default_configEfEEfPfS6_NS0_8identityIfEEEEvT1_mT2_T3_,"axG",@progbits,_ZN7rocprim17ROCPRIM_304000_NS6detail16transform_kernelINS1_24wrapped_transform_configINS0_14default_configEfEEfPfS6_NS0_8identityIfEEEEvT1_mT2_T3_,comdat
.Lfunc_end58:
	.size	_ZN7rocprim17ROCPRIM_304000_NS6detail16transform_kernelINS1_24wrapped_transform_configINS0_14default_configEfEEfPfS6_NS0_8identityIfEEEEvT1_mT2_T3_, .Lfunc_end58-_ZN7rocprim17ROCPRIM_304000_NS6detail16transform_kernelINS1_24wrapped_transform_configINS0_14default_configEfEEfPfS6_NS0_8identityIfEEEEvT1_mT2_T3_
                                        ; -- End function
	.section	.AMDGPU.csdata,"",@progbits
; Kernel info:
; codeLenInByte = 512
; NumSgprs: 20
; NumVgprs: 10
; NumAgprs: 0
; TotalNumVgprs: 10
; ScratchSize: 0
; MemoryBound: 0
; FloatMode: 240
; IeeeMode: 1
; LDSByteSize: 0 bytes/workgroup (compile time only)
; SGPRBlocks: 2
; VGPRBlocks: 1
; NumSGPRsForWavesPerEU: 20
; NumVGPRsForWavesPerEU: 10
; AccumOffset: 12
; Occupancy: 8
; WaveLimiterHint : 1
; COMPUTE_PGM_RSRC2:SCRATCH_EN: 0
; COMPUTE_PGM_RSRC2:USER_SGPR: 2
; COMPUTE_PGM_RSRC2:TRAP_HANDLER: 0
; COMPUTE_PGM_RSRC2:TGID_X_EN: 1
; COMPUTE_PGM_RSRC2:TGID_Y_EN: 0
; COMPUTE_PGM_RSRC2:TGID_Z_EN: 0
; COMPUTE_PGM_RSRC2:TIDIG_COMP_CNT: 0
; COMPUTE_PGM_RSRC3_GFX90A:ACCUM_OFFSET: 2
; COMPUTE_PGM_RSRC3_GFX90A:TG_SPLIT: 0
	.section	.text._ZN7rocprim17ROCPRIM_304000_NS6detail18single_scan_kernelILb0ENS1_19wrapped_scan_configINS0_14default_configEfEEPKfPfSt10multipliesIfEffEEvT1_mT4_T2_T3_,"axG",@progbits,_ZN7rocprim17ROCPRIM_304000_NS6detail18single_scan_kernelILb0ENS1_19wrapped_scan_configINS0_14default_configEfEEPKfPfSt10multipliesIfEffEEvT1_mT4_T2_T3_,comdat
	.protected	_ZN7rocprim17ROCPRIM_304000_NS6detail18single_scan_kernelILb0ENS1_19wrapped_scan_configINS0_14default_configEfEEPKfPfSt10multipliesIfEffEEvT1_mT4_T2_T3_ ; -- Begin function _ZN7rocprim17ROCPRIM_304000_NS6detail18single_scan_kernelILb0ENS1_19wrapped_scan_configINS0_14default_configEfEEPKfPfSt10multipliesIfEffEEvT1_mT4_T2_T3_
	.globl	_ZN7rocprim17ROCPRIM_304000_NS6detail18single_scan_kernelILb0ENS1_19wrapped_scan_configINS0_14default_configEfEEPKfPfSt10multipliesIfEffEEvT1_mT4_T2_T3_
	.p2align	8
	.type	_ZN7rocprim17ROCPRIM_304000_NS6detail18single_scan_kernelILb0ENS1_19wrapped_scan_configINS0_14default_configEfEEPKfPfSt10multipliesIfEffEEvT1_mT4_T2_T3_,@function
_ZN7rocprim17ROCPRIM_304000_NS6detail18single_scan_kernelILb0ENS1_19wrapped_scan_configINS0_14default_configEfEEPKfPfSt10multipliesIfEffEEvT1_mT4_T2_T3_: ; @_ZN7rocprim17ROCPRIM_304000_NS6detail18single_scan_kernelILb0ENS1_19wrapped_scan_configINS0_14default_configEfEEPKfPfSt10multipliesIfEffEEvT1_mT4_T2_T3_
; %bb.0:
	s_load_dwordx4 s[48:51], s[0:1], 0x0
	v_mov_b32_e32 v27, 0
	v_lshlrev_b32_e32 v26, 2, v0
	s_waitcnt lgkmcnt(0)
	s_load_dword s33, s[48:49], 0x0
	v_lshl_add_u64 v[2:3], s[48:49], 0, v[26:27]
	v_cmp_gt_u32_e64 s[24:25], s50, v0
	s_waitcnt lgkmcnt(0)
	v_mov_b32_e32 v1, s33
	s_and_saveexec_b64 s[2:3], s[24:25]
	s_cbranch_execz .LBB59_2
; %bb.1:
	global_load_dword v1, v[2:3], off
.LBB59_2:
	s_or_b64 exec, exec, s[2:3]
	v_or_b32_e32 v4, 0x100, v0
	v_cmp_gt_u32_e64 s[2:3], s50, v4
	v_mov_b32_e32 v4, s33
	s_and_saveexec_b64 s[4:5], s[2:3]
	s_cbranch_execz .LBB59_4
; %bb.3:
	global_load_dword v4, v[2:3], off offset:1024
.LBB59_4:
	s_or_b64 exec, exec, s[4:5]
	v_or_b32_e32 v5, 0x200, v0
	v_cmp_gt_u32_e64 s[4:5], s50, v5
	v_mov_b32_e32 v5, s33
	s_and_saveexec_b64 s[6:7], s[4:5]
	s_cbranch_execz .LBB59_6
; %bb.5:
	global_load_dword v5, v[2:3], off offset:2048
.LBB59_6:
	;; [unrolled: 9-line block ×3, first 2 shown]
	s_or_b64 exec, exec, s[8:9]
	v_or_b32_e32 v7, 0x400, v0
	v_cmp_gt_u32_e64 s[8:9], s50, v7
	v_mov_b32_e32 v7, s33
	s_and_saveexec_b64 s[10:11], s[8:9]
	s_cbranch_execz .LBB59_10
; %bb.9:
	v_add_co_u32_e32 v8, vcc, 0x1000, v2
	s_nop 1
	v_addc_co_u32_e32 v9, vcc, 0, v3, vcc
	global_load_dword v7, v[8:9], off
.LBB59_10:
	s_or_b64 exec, exec, s[10:11]
	v_or_b32_e32 v8, 0x500, v0
	v_cmp_gt_u32_e64 s[10:11], s50, v8
	v_mov_b32_e32 v8, s33
	s_and_saveexec_b64 s[12:13], s[10:11]
	s_cbranch_execz .LBB59_12
; %bb.11:
	v_add_co_u32_e32 v8, vcc, 0x1000, v2
	s_nop 1
	v_addc_co_u32_e32 v9, vcc, 0, v3, vcc
	global_load_dword v8, v[8:9], off offset:1024
.LBB59_12:
	s_or_b64 exec, exec, s[12:13]
	v_or_b32_e32 v9, 0x600, v0
	v_cmp_gt_u32_e64 s[12:13], s50, v9
	v_mov_b32_e32 v9, s33
	s_and_saveexec_b64 s[14:15], s[12:13]
	s_cbranch_execz .LBB59_14
; %bb.13:
	v_add_co_u32_e32 v10, vcc, 0x1000, v2
	s_nop 1
	v_addc_co_u32_e32 v11, vcc, 0, v3, vcc
	global_load_dword v9, v[10:11], off offset:2048
.LBB59_14:
	s_or_b64 exec, exec, s[14:15]
	v_or_b32_e32 v10, 0x700, v0
	v_cmp_gt_u32_e64 s[14:15], s50, v10
	v_mov_b32_e32 v10, s33
	s_and_saveexec_b64 s[16:17], s[14:15]
	s_cbranch_execz .LBB59_16
; %bb.15:
	v_add_co_u32_e32 v10, vcc, 0x1000, v2
	s_nop 1
	v_addc_co_u32_e32 v11, vcc, 0, v3, vcc
	global_load_dword v10, v[10:11], off offset:3072
.LBB59_16:
	s_or_b64 exec, exec, s[16:17]
	v_or_b32_e32 v11, 0x800, v0
	v_cmp_gt_u32_e64 s[16:17], s50, v11
	v_mov_b32_e32 v11, s33
	s_and_saveexec_b64 s[18:19], s[16:17]
	s_cbranch_execz .LBB59_18
; %bb.17:
	v_add_co_u32_e32 v12, vcc, 0x2000, v2
	s_nop 1
	v_addc_co_u32_e32 v13, vcc, 0, v3, vcc
	global_load_dword v11, v[12:13], off
.LBB59_18:
	s_or_b64 exec, exec, s[18:19]
	v_or_b32_e32 v12, 0x900, v0
	v_cmp_gt_u32_e64 s[18:19], s50, v12
	v_mov_b32_e32 v12, s33
	s_and_saveexec_b64 s[20:21], s[18:19]
	s_cbranch_execz .LBB59_20
; %bb.19:
	v_add_co_u32_e32 v12, vcc, 0x2000, v2
	s_nop 1
	v_addc_co_u32_e32 v13, vcc, 0, v3, vcc
	global_load_dword v12, v[12:13], off offset:1024
.LBB59_20:
	s_or_b64 exec, exec, s[20:21]
	v_or_b32_e32 v13, 0xa00, v0
	v_cmp_gt_u32_e64 s[20:21], s50, v13
	v_mov_b32_e32 v13, s33
	s_and_saveexec_b64 s[22:23], s[20:21]
	s_cbranch_execz .LBB59_22
; %bb.21:
	v_add_co_u32_e32 v14, vcc, 0x2000, v2
	s_nop 1
	v_addc_co_u32_e32 v15, vcc, 0, v3, vcc
	global_load_dword v13, v[14:15], off offset:2048
.LBB59_22:
	s_or_b64 exec, exec, s[22:23]
	v_or_b32_e32 v14, 0xb00, v0
	v_cmp_gt_u32_e64 s[22:23], s50, v14
	v_mov_b32_e32 v14, s33
	s_and_saveexec_b64 s[26:27], s[22:23]
	s_cbranch_execz .LBB59_24
; %bb.23:
	v_add_co_u32_e32 v14, vcc, 0x2000, v2
	s_nop 1
	v_addc_co_u32_e32 v15, vcc, 0, v3, vcc
	global_load_dword v14, v[14:15], off offset:3072
.LBB59_24:
	;; [unrolled: 48-line block ×5, first 2 shown]
	s_or_b64 exec, exec, s[52:53]
	s_movk_i32 s33, 0x5c
	s_waitcnt vmcnt(0)
	ds_write2st64_b32 v26, v1, v4 offset1:4
	ds_write2st64_b32 v26, v5, v6 offset0:8 offset1:12
	ds_write2st64_b32 v26, v7, v8 offset0:16 offset1:20
	;; [unrolled: 1-line block ×11, first 2 shown]
	v_mad_u32_u24 v1, v0, s33, v26
	s_waitcnt lgkmcnt(0)
	s_barrier
	ds_read_b128 v[22:25], v1
	ds_read_b128 v[18:21], v1 offset:16
	ds_read_b128 v[14:17], v1 offset:32
	;; [unrolled: 1-line block ×5, first 2 shown]
	s_waitcnt lgkmcnt(5)
	v_mul_f32_e32 v27, v22, v23
	v_mul_f32_e32 v27, v27, v24
	v_mul_f32_e32 v27, v27, v25
	s_waitcnt lgkmcnt(4)
	v_mul_f32_e32 v27, v27, v18
	v_mul_f32_e32 v27, v27, v19
	v_mul_f32_e32 v27, v27, v20
	v_mul_f32_e32 v27, v27, v21
	s_waitcnt lgkmcnt(3)
	v_mul_f32_e32 v27, v27, v14
	;; [unrolled: 5-line block ×5, first 2 shown]
	v_mul_f32_e32 v27, v27, v3
	v_lshrrev_b32_e32 v28, 3, v0
	v_mul_f32_e32 v27, v27, v4
	v_and_b32_e32 v29, 28, v28
	v_mul_f32_e32 v27, v27, v5
	v_add_u32_e32 v29, v26, v29
	v_cmp_gt_u32_e32 vcc, 64, v0
	s_barrier
	ds_write_b32 v29, v27
	s_waitcnt lgkmcnt(0)
	s_barrier
	s_and_saveexec_b64 s[52:53], vcc
	s_cbranch_execz .LBB59_50
; %bb.49:
	v_add_lshl_u32 v32, v28, v26, 2
	ds_read2_b32 v[28:29], v32 offset1:1
	ds_read2_b32 v[30:31], v32 offset0:2 offset1:3
	v_mbcnt_lo_u32_b32 v33, -1, 0
	v_mbcnt_hi_u32_b32 v33, -1, v33
	v_and_b32_e32 v34, 15, v33
	s_waitcnt lgkmcnt(1)
	v_mul_f32_e32 v35, v28, v29
	s_waitcnt lgkmcnt(0)
	v_mul_f32_e32 v35, v35, v30
	v_mul_f32_e32 v35, v35, v31
	v_cmp_eq_u32_e32 vcc, 0, v34
	s_nop 0
	v_mov_b32_dpp v36, v35 row_shr:1 row_mask:0xf bank_mask:0xf
	v_mul_f32_e32 v36, v35, v36
	v_cndmask_b32_e32 v35, v36, v35, vcc
	v_cmp_lt_u32_e32 vcc, 1, v34
	s_nop 0
	v_mov_b32_dpp v36, v35 row_shr:2 row_mask:0xf bank_mask:0xf
	v_mul_f32_e32 v36, v35, v36
	v_cndmask_b32_e32 v35, v35, v36, vcc
	v_cmp_lt_u32_e32 vcc, 3, v34
	;; [unrolled: 5-line block ×3, first 2 shown]
	s_nop 0
	v_mov_b32_dpp v36, v35 row_shr:8 row_mask:0xf bank_mask:0xf
	v_mul_f32_e32 v36, v35, v36
	v_cndmask_b32_e32 v34, v35, v36, vcc
	v_and_b32_e32 v36, 16, v33
	v_cmp_eq_u32_e32 vcc, 0, v36
	v_mov_b32_dpp v35, v34 row_bcast:15 row_mask:0xf bank_mask:0xf
	v_mul_f32_e32 v35, v34, v35
	v_cndmask_b32_e32 v34, v35, v34, vcc
	v_cmp_lt_u32_e32 vcc, 31, v33
	v_and_b32_e32 v36, 64, v33
	v_mov_b32_dpp v35, v34 row_bcast:31 row_mask:0xf bank_mask:0xf
	v_mul_f32_e32 v35, v34, v35
	v_cndmask_b32_e32 v34, v34, v35, vcc
	v_add_u32_e32 v35, -1, v33
	v_cmp_lt_i32_e32 vcc, v35, v36
	s_nop 1
	v_cndmask_b32_e32 v33, v35, v33, vcc
	v_lshlrev_b32_e32 v33, 2, v33
	ds_bpermute_b32 v33, v33, v34
	v_cmp_eq_u32_e32 vcc, 0, v0
	s_waitcnt lgkmcnt(0)
	v_mul_f32_e32 v28, v28, v33
	v_cndmask_b32_e32 v28, v28, v27, vcc
	v_mul_f32_e32 v29, v29, v28
	ds_write2_b32 v32, v28, v29 offset1:1
	v_mul_f32_e32 v28, v30, v29
	v_mul_f32_e32 v29, v31, v28
	ds_write2_b32 v32, v28, v29 offset0:2 offset1:3
.LBB59_50:
	s_or_b64 exec, exec, s[52:53]
	v_cmp_eq_u32_e32 vcc, 0, v0
	v_cmp_ne_u32_e64 s[52:53], 0, v0
	s_waitcnt lgkmcnt(0)
	s_barrier
	s_and_saveexec_b64 s[54:55], s[52:53]
	s_cbranch_execz .LBB59_52
; %bb.51:
	v_add_u32_e32 v27, -1, v0
	v_lshrrev_b32_e32 v28, 5, v27
	v_add_lshl_u32 v27, v28, v27, 2
	ds_read_b32 v27, v27
.LBB59_52:
	s_or_b64 exec, exec, s[54:55]
	s_waitcnt lgkmcnt(0)
	v_mul_f32_e32 v27, v22, v27
	v_cndmask_b32_e32 v22, v27, v22, vcc
	v_mul_f32_e32 v23, v23, v22
	v_mul_f32_e32 v24, v24, v23
	;; [unrolled: 1-line block ×22, first 2 shown]
	s_movk_i32 s33, 0xffa4
	v_mul_f32_e32 v5, v5, v4
	v_mad_i32_i24 v0, v0, s33, v1
	s_barrier
	ds_write_b128 v1, v[22:25]
	ds_write_b128 v1, v[18:21] offset:16
	ds_write_b128 v1, v[14:17] offset:32
	ds_write_b128 v1, v[10:13] offset:48
	ds_write_b128 v1, v[6:9] offset:64
	ds_write_b128 v1, v[2:5] offset:80
	s_waitcnt lgkmcnt(0)
	s_barrier
	ds_read2st64_b32 v[22:23], v0 offset0:4 offset1:8
	ds_read2st64_b32 v[20:21], v0 offset0:12 offset1:20
	;; [unrolled: 1-line block ×10, first 2 shown]
	ds_read_b32 v24, v26 offset:20480
	ds_read2st64_b32 v[0:1], v0 offset0:88 offset1:92
	s_load_dwordx2 s[0:1], s[0:1], 0x18
	v_mov_b32_e32 v27, 0
	s_waitcnt lgkmcnt(0)
	v_lshl_add_u64 v[2:3], s[0:1], 0, v[26:27]
	s_and_saveexec_b64 s[0:1], s[24:25]
	s_cbranch_execnz .LBB59_77
; %bb.53:
	s_or_b64 exec, exec, s[0:1]
	s_and_saveexec_b64 s[0:1], s[2:3]
	s_cbranch_execnz .LBB59_78
.LBB59_54:
	s_or_b64 exec, exec, s[0:1]
	s_and_saveexec_b64 s[0:1], s[4:5]
	s_cbranch_execnz .LBB59_79
.LBB59_55:
	s_or_b64 exec, exec, s[0:1]
	s_and_saveexec_b64 s[0:1], s[6:7]
	s_cbranch_execnz .LBB59_80
.LBB59_56:
	s_or_b64 exec, exec, s[0:1]
	s_and_saveexec_b64 s[0:1], s[8:9]
	s_cbranch_execnz .LBB59_81
.LBB59_57:
	s_or_b64 exec, exec, s[0:1]
	s_and_saveexec_b64 s[0:1], s[10:11]
	s_cbranch_execnz .LBB59_82
.LBB59_58:
	s_or_b64 exec, exec, s[0:1]
	s_and_saveexec_b64 s[0:1], s[12:13]
	s_cbranch_execnz .LBB59_83
.LBB59_59:
	s_or_b64 exec, exec, s[0:1]
	s_and_saveexec_b64 s[0:1], s[14:15]
	s_cbranch_execnz .LBB59_84
.LBB59_60:
	s_or_b64 exec, exec, s[0:1]
	s_and_saveexec_b64 s[0:1], s[16:17]
	s_cbranch_execnz .LBB59_85
.LBB59_61:
	s_or_b64 exec, exec, s[0:1]
	s_and_saveexec_b64 s[0:1], s[18:19]
	s_cbranch_execnz .LBB59_86
.LBB59_62:
	s_or_b64 exec, exec, s[0:1]
	s_and_saveexec_b64 s[0:1], s[20:21]
	s_cbranch_execnz .LBB59_87
.LBB59_63:
	s_or_b64 exec, exec, s[0:1]
	s_and_saveexec_b64 s[0:1], s[22:23]
	s_cbranch_execnz .LBB59_88
.LBB59_64:
	s_or_b64 exec, exec, s[0:1]
	s_and_saveexec_b64 s[0:1], s[26:27]
	s_cbranch_execnz .LBB59_89
.LBB59_65:
	s_or_b64 exec, exec, s[0:1]
	s_and_saveexec_b64 s[0:1], s[28:29]
	s_cbranch_execnz .LBB59_90
.LBB59_66:
	s_or_b64 exec, exec, s[0:1]
	s_and_saveexec_b64 s[0:1], s[30:31]
	s_cbranch_execnz .LBB59_91
.LBB59_67:
	s_or_b64 exec, exec, s[0:1]
	s_and_saveexec_b64 s[0:1], s[34:35]
	s_cbranch_execnz .LBB59_92
.LBB59_68:
	s_or_b64 exec, exec, s[0:1]
	s_and_saveexec_b64 s[0:1], s[36:37]
	s_cbranch_execnz .LBB59_93
.LBB59_69:
	s_or_b64 exec, exec, s[0:1]
	s_and_saveexec_b64 s[0:1], s[38:39]
	s_cbranch_execnz .LBB59_94
.LBB59_70:
	s_or_b64 exec, exec, s[0:1]
	s_and_saveexec_b64 s[0:1], s[40:41]
	s_cbranch_execnz .LBB59_95
.LBB59_71:
	s_or_b64 exec, exec, s[0:1]
	s_and_saveexec_b64 s[0:1], s[42:43]
	s_cbranch_execnz .LBB59_96
.LBB59_72:
	s_or_b64 exec, exec, s[0:1]
	s_and_saveexec_b64 s[0:1], s[44:45]
	s_cbranch_execnz .LBB59_97
.LBB59_73:
	s_or_b64 exec, exec, s[0:1]
	s_and_saveexec_b64 s[0:1], s[46:47]
	s_cbranch_execnz .LBB59_98
.LBB59_74:
	s_or_b64 exec, exec, s[0:1]
	s_and_saveexec_b64 s[0:1], s[48:49]
	s_cbranch_execnz .LBB59_99
.LBB59_75:
	s_or_b64 exec, exec, s[0:1]
	s_and_saveexec_b64 s[0:1], s[50:51]
	s_cbranch_execnz .LBB59_100
.LBB59_76:
	s_endpgm
.LBB59_77:
	ds_read_b32 v25, v26
	s_waitcnt lgkmcnt(0)
	global_store_dword v[2:3], v25, off
	s_or_b64 exec, exec, s[0:1]
	s_and_saveexec_b64 s[0:1], s[2:3]
	s_cbranch_execz .LBB59_54
.LBB59_78:
	global_store_dword v[2:3], v22, off offset:1024
	s_or_b64 exec, exec, s[0:1]
	s_and_saveexec_b64 s[0:1], s[4:5]
	s_cbranch_execz .LBB59_55
.LBB59_79:
	global_store_dword v[2:3], v23, off offset:2048
	s_or_b64 exec, exec, s[0:1]
	s_and_saveexec_b64 s[0:1], s[6:7]
	s_cbranch_execz .LBB59_56
.LBB59_80:
	global_store_dword v[2:3], v20, off offset:3072
	s_or_b64 exec, exec, s[0:1]
	s_and_saveexec_b64 s[0:1], s[8:9]
	s_cbranch_execz .LBB59_57
.LBB59_81:
	v_add_co_u32_e32 v22, vcc, 0x1000, v2
	s_nop 1
	v_addc_co_u32_e32 v23, vcc, 0, v3, vcc
	global_store_dword v[22:23], v16, off
	s_or_b64 exec, exec, s[0:1]
	s_and_saveexec_b64 s[0:1], s[10:11]
	s_cbranch_execz .LBB59_58
.LBB59_82:
	v_add_co_u32_e32 v22, vcc, 0x1000, v2
	s_nop 1
	v_addc_co_u32_e32 v23, vcc, 0, v3, vcc
	global_store_dword v[22:23], v21, off offset:1024
	s_or_b64 exec, exec, s[0:1]
	s_and_saveexec_b64 s[0:1], s[12:13]
	s_cbranch_execz .LBB59_59
.LBB59_83:
	v_add_co_u32_e32 v20, vcc, 0x1000, v2
	s_nop 1
	v_addc_co_u32_e32 v21, vcc, 0, v3, vcc
	global_store_dword v[20:21], v18, off offset:2048
	s_or_b64 exec, exec, s[0:1]
	s_and_saveexec_b64 s[0:1], s[14:15]
	s_cbranch_execz .LBB59_60
.LBB59_84:
	v_add_co_u32_e32 v20, vcc, 0x1000, v2
	s_nop 1
	v_addc_co_u32_e32 v21, vcc, 0, v3, vcc
	global_store_dword v[20:21], v19, off offset:3072
	s_or_b64 exec, exec, s[0:1]
	s_and_saveexec_b64 s[0:1], s[16:17]
	s_cbranch_execz .LBB59_61
.LBB59_85:
	v_add_co_u32_e32 v18, vcc, 0x2000, v2
	s_nop 1
	v_addc_co_u32_e32 v19, vcc, 0, v3, vcc
	global_store_dword v[18:19], v17, off
	s_or_b64 exec, exec, s[0:1]
	s_and_saveexec_b64 s[0:1], s[18:19]
	s_cbranch_execz .LBB59_62
.LBB59_86:
	v_add_co_u32_e32 v16, vcc, 0x2000, v2
	s_nop 1
	v_addc_co_u32_e32 v17, vcc, 0, v3, vcc
	global_store_dword v[16:17], v14, off offset:1024
	s_or_b64 exec, exec, s[0:1]
	s_and_saveexec_b64 s[0:1], s[20:21]
	s_cbranch_execz .LBB59_63
.LBB59_87:
	v_add_co_u32_e32 v16, vcc, 0x2000, v2
	s_nop 1
	v_addc_co_u32_e32 v17, vcc, 0, v3, vcc
	global_store_dword v[16:17], v15, off offset:2048
	s_or_b64 exec, exec, s[0:1]
	s_and_saveexec_b64 s[0:1], s[22:23]
	s_cbranch_execz .LBB59_64
.LBB59_88:
	v_add_co_u32_e32 v14, vcc, 0x2000, v2
	s_nop 1
	v_addc_co_u32_e32 v15, vcc, 0, v3, vcc
	global_store_dword v[14:15], v12, off offset:3072
	s_or_b64 exec, exec, s[0:1]
	s_and_saveexec_b64 s[0:1], s[26:27]
	s_cbranch_execz .LBB59_65
.LBB59_89:
	v_add_co_u32_e32 v14, vcc, 0x3000, v2
	s_nop 1
	v_addc_co_u32_e32 v15, vcc, 0, v3, vcc
	global_store_dword v[14:15], v8, off
	s_or_b64 exec, exec, s[0:1]
	s_and_saveexec_b64 s[0:1], s[28:29]
	s_cbranch_execz .LBB59_66
.LBB59_90:
	v_add_co_u32_e32 v14, vcc, 0x3000, v2
	s_nop 1
	v_addc_co_u32_e32 v15, vcc, 0, v3, vcc
	global_store_dword v[14:15], v13, off offset:1024
	s_or_b64 exec, exec, s[0:1]
	s_and_saveexec_b64 s[0:1], s[30:31]
	s_cbranch_execz .LBB59_67
.LBB59_91:
	v_add_co_u32_e32 v12, vcc, 0x3000, v2
	s_nop 1
	v_addc_co_u32_e32 v13, vcc, 0, v3, vcc
	global_store_dword v[12:13], v10, off offset:2048
	s_or_b64 exec, exec, s[0:1]
	s_and_saveexec_b64 s[0:1], s[34:35]
	s_cbranch_execz .LBB59_68
.LBB59_92:
	v_add_co_u32_e32 v12, vcc, 0x3000, v2
	s_nop 1
	v_addc_co_u32_e32 v13, vcc, 0, v3, vcc
	global_store_dword v[12:13], v11, off offset:3072
	s_or_b64 exec, exec, s[0:1]
	s_and_saveexec_b64 s[0:1], s[36:37]
	s_cbranch_execz .LBB59_69
.LBB59_93:
	v_add_co_u32_e32 v10, vcc, 0x4000, v2
	s_nop 1
	v_addc_co_u32_e32 v11, vcc, 0, v3, vcc
	global_store_dword v[10:11], v9, off
	s_or_b64 exec, exec, s[0:1]
	s_and_saveexec_b64 s[0:1], s[38:39]
	s_cbranch_execz .LBB59_70
.LBB59_94:
	v_add_co_u32_e32 v8, vcc, 0x4000, v2
	s_nop 1
	v_addc_co_u32_e32 v9, vcc, 0, v3, vcc
	global_store_dword v[8:9], v6, off offset:1024
	s_or_b64 exec, exec, s[0:1]
	s_and_saveexec_b64 s[0:1], s[40:41]
	s_cbranch_execz .LBB59_71
.LBB59_95:
	v_add_co_u32_e32 v8, vcc, 0x4000, v2
	s_nop 1
	v_addc_co_u32_e32 v9, vcc, 0, v3, vcc
	global_store_dword v[8:9], v7, off offset:2048
	s_or_b64 exec, exec, s[0:1]
	s_and_saveexec_b64 s[0:1], s[42:43]
	s_cbranch_execz .LBB59_72
.LBB59_96:
	v_add_co_u32_e32 v6, vcc, 0x4000, v2
	s_nop 1
	v_addc_co_u32_e32 v7, vcc, 0, v3, vcc
	global_store_dword v[6:7], v4, off offset:3072
	s_or_b64 exec, exec, s[0:1]
	s_and_saveexec_b64 s[0:1], s[44:45]
	s_cbranch_execz .LBB59_73
.LBB59_97:
	v_add_co_u32_e32 v6, vcc, 0x5000, v2
	s_nop 1
	v_addc_co_u32_e32 v7, vcc, 0, v3, vcc
	global_store_dword v[6:7], v24, off
	s_or_b64 exec, exec, s[0:1]
	s_and_saveexec_b64 s[0:1], s[46:47]
	s_cbranch_execz .LBB59_74
.LBB59_98:
	v_add_co_u32_e32 v6, vcc, 0x5000, v2
	s_nop 1
	v_addc_co_u32_e32 v7, vcc, 0, v3, vcc
	global_store_dword v[6:7], v5, off offset:1024
	s_or_b64 exec, exec, s[0:1]
	s_and_saveexec_b64 s[0:1], s[48:49]
	s_cbranch_execz .LBB59_75
.LBB59_99:
	v_add_co_u32_e32 v4, vcc, 0x5000, v2
	s_nop 1
	v_addc_co_u32_e32 v5, vcc, 0, v3, vcc
	global_store_dword v[4:5], v0, off offset:2048
	s_or_b64 exec, exec, s[0:1]
	s_and_saveexec_b64 s[0:1], s[50:51]
	s_cbranch_execz .LBB59_76
.LBB59_100:
	v_add_co_u32_e32 v2, vcc, 0x5000, v2
	s_nop 1
	v_addc_co_u32_e32 v3, vcc, 0, v3, vcc
	global_store_dword v[2:3], v1, off offset:3072
	s_endpgm
	.section	.rodata,"a",@progbits
	.p2align	6, 0x0
	.amdhsa_kernel _ZN7rocprim17ROCPRIM_304000_NS6detail18single_scan_kernelILb0ENS1_19wrapped_scan_configINS0_14default_configEfEEPKfPfSt10multipliesIfEffEEvT1_mT4_T2_T3_
		.amdhsa_group_segment_fixed_size 24576
		.amdhsa_private_segment_fixed_size 0
		.amdhsa_kernarg_size 36
		.amdhsa_user_sgpr_count 2
		.amdhsa_user_sgpr_dispatch_ptr 0
		.amdhsa_user_sgpr_queue_ptr 0
		.amdhsa_user_sgpr_kernarg_segment_ptr 1
		.amdhsa_user_sgpr_dispatch_id 0
		.amdhsa_user_sgpr_kernarg_preload_length 0
		.amdhsa_user_sgpr_kernarg_preload_offset 0
		.amdhsa_user_sgpr_private_segment_size 0
		.amdhsa_uses_dynamic_stack 0
		.amdhsa_enable_private_segment 0
		.amdhsa_system_sgpr_workgroup_id_x 1
		.amdhsa_system_sgpr_workgroup_id_y 0
		.amdhsa_system_sgpr_workgroup_id_z 0
		.amdhsa_system_sgpr_workgroup_info 0
		.amdhsa_system_vgpr_workitem_id 0
		.amdhsa_next_free_vgpr 37
		.amdhsa_next_free_sgpr 56
		.amdhsa_accum_offset 40
		.amdhsa_reserve_vcc 1
		.amdhsa_float_round_mode_32 0
		.amdhsa_float_round_mode_16_64 0
		.amdhsa_float_denorm_mode_32 3
		.amdhsa_float_denorm_mode_16_64 3
		.amdhsa_dx10_clamp 1
		.amdhsa_ieee_mode 1
		.amdhsa_fp16_overflow 0
		.amdhsa_tg_split 0
		.amdhsa_exception_fp_ieee_invalid_op 0
		.amdhsa_exception_fp_denorm_src 0
		.amdhsa_exception_fp_ieee_div_zero 0
		.amdhsa_exception_fp_ieee_overflow 0
		.amdhsa_exception_fp_ieee_underflow 0
		.amdhsa_exception_fp_ieee_inexact 0
		.amdhsa_exception_int_div_zero 0
	.end_amdhsa_kernel
	.section	.text._ZN7rocprim17ROCPRIM_304000_NS6detail18single_scan_kernelILb0ENS1_19wrapped_scan_configINS0_14default_configEfEEPKfPfSt10multipliesIfEffEEvT1_mT4_T2_T3_,"axG",@progbits,_ZN7rocprim17ROCPRIM_304000_NS6detail18single_scan_kernelILb0ENS1_19wrapped_scan_configINS0_14default_configEfEEPKfPfSt10multipliesIfEffEEvT1_mT4_T2_T3_,comdat
.Lfunc_end59:
	.size	_ZN7rocprim17ROCPRIM_304000_NS6detail18single_scan_kernelILb0ENS1_19wrapped_scan_configINS0_14default_configEfEEPKfPfSt10multipliesIfEffEEvT1_mT4_T2_T3_, .Lfunc_end59-_ZN7rocprim17ROCPRIM_304000_NS6detail18single_scan_kernelILb0ENS1_19wrapped_scan_configINS0_14default_configEfEEPKfPfSt10multipliesIfEffEEvT1_mT4_T2_T3_
                                        ; -- End function
	.section	.AMDGPU.csdata,"",@progbits
; Kernel info:
; codeLenInByte = 3368
; NumSgprs: 62
; NumVgprs: 37
; NumAgprs: 0
; TotalNumVgprs: 37
; ScratchSize: 0
; MemoryBound: 0
; FloatMode: 240
; IeeeMode: 1
; LDSByteSize: 24576 bytes/workgroup (compile time only)
; SGPRBlocks: 7
; VGPRBlocks: 4
; NumSGPRsForWavesPerEU: 62
; NumVGPRsForWavesPerEU: 37
; AccumOffset: 40
; Occupancy: 2
; WaveLimiterHint : 0
; COMPUTE_PGM_RSRC2:SCRATCH_EN: 0
; COMPUTE_PGM_RSRC2:USER_SGPR: 2
; COMPUTE_PGM_RSRC2:TRAP_HANDLER: 0
; COMPUTE_PGM_RSRC2:TGID_X_EN: 1
; COMPUTE_PGM_RSRC2:TGID_Y_EN: 0
; COMPUTE_PGM_RSRC2:TGID_Z_EN: 0
; COMPUTE_PGM_RSRC2:TIDIG_COMP_CNT: 0
; COMPUTE_PGM_RSRC3_GFX90A:ACCUM_OFFSET: 9
; COMPUTE_PGM_RSRC3_GFX90A:TG_SPLIT: 0
	.section	.text._ZN2at6native32tensor_kernel_scan_innermost_dimIfSt10multipliesIfEEEvPT_PKS4_jjjS4_T0_,"axG",@progbits,_ZN2at6native32tensor_kernel_scan_innermost_dimIfSt10multipliesIfEEEvPT_PKS4_jjjS4_T0_,comdat
	.protected	_ZN2at6native32tensor_kernel_scan_innermost_dimIfSt10multipliesIfEEEvPT_PKS4_jjjS4_T0_ ; -- Begin function _ZN2at6native32tensor_kernel_scan_innermost_dimIfSt10multipliesIfEEEvPT_PKS4_jjjS4_T0_
	.globl	_ZN2at6native32tensor_kernel_scan_innermost_dimIfSt10multipliesIfEEEvPT_PKS4_jjjS4_T0_
	.p2align	8
	.type	_ZN2at6native32tensor_kernel_scan_innermost_dimIfSt10multipliesIfEEEvPT_PKS4_jjjS4_T0_,@function
_ZN2at6native32tensor_kernel_scan_innermost_dimIfSt10multipliesIfEEEvPT_PKS4_jjjS4_T0_: ; @_ZN2at6native32tensor_kernel_scan_innermost_dimIfSt10multipliesIfEEEvPT_PKS4_jjjS4_T0_
; %bb.0:
	s_load_dwordx8 s[12:19], s[0:1], 0x0
	v_bfe_u32 v2, v0, 10, 10
	s_waitcnt lgkmcnt(0)
	s_lshl_b32 s3, 2, s18
	v_mul_lo_u32 v1, s3, v2
	s_mul_hi_u32 s4, s16, s17
	s_mov_b32 s20, s16
	v_lshl_add_u32 v18, v1, 2, 0
	s_cmp_lg_u32 s4, 0
	s_mov_b64 s[4:5], -1
	s_cbranch_scc1 .LBB60_26
; %bb.1:
	s_load_dword s6, s[0:1], 0x34
	s_add_u32 s4, s0, 40
	s_addc_u32 s5, s1, 0
	s_waitcnt lgkmcnt(0)
	s_lshr_b32 s6, s6, 16
	s_mul_i32 s21, s2, s6
	s_cmp_ge_u32 s21, s16
	s_cbranch_scc1 .LBB60_25
; %bb.2:
	s_load_dword s27, s[4:5], 0x0
	s_lshl_b32 s26, 1, s18
	s_cmp_lg_u32 s17, 0
	v_and_b32_e32 v1, 0x3ff, v0
	s_cselect_b64 s[4:5], -1, 0
	v_lshl_add_u32 v3, v1, 2, v18
	v_add_u32_e32 v13, -4, v18
	v_cndmask_b32_e64 v4, 0, 1, s[4:5]
	v_lshl_add_u32 v12, s26, 2, v3
	v_cmp_eq_u32_e64 s[8:9], 0, v1
	v_lshl_add_u32 v14, s3, 2, v13
	s_waitcnt lgkmcnt(0)
	s_mul_i32 s27, s27, s6
	s_add_i32 s28, s18, 1
	v_cmp_ne_u32_e64 s[4:5], 1, v4
	v_mov_b32_e32 v5, 0
	s_branch .LBB60_4
.LBB60_3:                               ;   in Loop: Header=BB60_4 Depth=1
	s_add_i32 s21, s21, s27
	s_cmp_ge_u32 s21, s16
	s_cbranch_scc1 .LBB60_25
.LBB60_4:                               ; =>This Loop Header: Depth=1
                                        ;     Child Loop BB60_7 Depth 2
                                        ;       Child Loop BB60_16 Depth 3
	s_and_b64 vcc, exec, s[4:5]
	s_cbranch_vccnz .LBB60_3
; %bb.5:                                ;   in Loop: Header=BB60_4 Depth=1
	v_add_u32_e32 v10, s21, v2
	v_mul_lo_u32 v4, v10, s17
	v_lshlrev_b64 v[8:9], 2, v[4:5]
	v_lshl_add_u64 v[6:7], s[14:15], 0, v[8:9]
	v_lshl_add_u64 v[8:9], s[12:13], 0, v[8:9]
	v_cmp_gt_u32_e32 vcc, s16, v10
	v_cmp_le_u32_e64 s[6:7], s16, v10
	s_mov_b32 s29, 0
	v_mov_b32_e32 v15, s19
	s_branch .LBB60_7
.LBB60_6:                               ;   in Loop: Header=BB60_7 Depth=2
	s_or_b64 exec, exec, s[22:23]
	ds_read_b32 v15, v14
	s_add_i32 s29, s29, s3
	s_cmp_ge_u32 s29, s17
	s_waitcnt lgkmcnt(0)
	s_barrier
	s_cbranch_scc1 .LBB60_3
.LBB60_7:                               ;   Parent Loop BB60_4 Depth=1
                                        ; =>  This Loop Header: Depth=2
                                        ;       Child Loop BB60_16 Depth 3
	v_add_u32_e32 v4, s29, v1
	v_add_u32_e32 v10, s26, v4
	s_and_saveexec_b64 s[22:23], vcc
	s_cbranch_execz .LBB60_14
; %bb.8:                                ;   in Loop: Header=BB60_7 Depth=2
	v_cmp_gt_u32_e64 s[10:11], s17, v4
	v_mov_b32_e32 v11, s19
	s_and_saveexec_b64 s[24:25], s[10:11]
	s_cbranch_execz .LBB60_10
; %bb.9:                                ;   in Loop: Header=BB60_7 Depth=2
	v_lshl_add_u64 v[16:17], v[4:5], 2, v[6:7]
	global_load_dword v11, v[16:17], off
.LBB60_10:                              ;   in Loop: Header=BB60_7 Depth=2
	s_or_b64 exec, exec, s[24:25]
	s_waitcnt vmcnt(0)
	ds_write_b32 v3, v11
	v_cmp_gt_u32_e64 s[10:11], s17, v10
	v_mov_b32_e32 v11, s19
	s_and_saveexec_b64 s[24:25], s[10:11]
	s_cbranch_execz .LBB60_12
; %bb.11:                               ;   in Loop: Header=BB60_7 Depth=2
	v_mov_b32_e32 v11, v5
	v_lshl_add_u64 v[16:17], v[10:11], 2, v[6:7]
	global_load_dword v11, v[16:17], off
.LBB60_12:                              ;   in Loop: Header=BB60_7 Depth=2
	s_or_b64 exec, exec, s[24:25]
	s_waitcnt vmcnt(0)
	ds_write_b32 v12, v11
	s_and_b64 exec, exec, s[8:9]
	s_cbranch_execz .LBB60_14
; %bb.13:                               ;   in Loop: Header=BB60_7 Depth=2
	ds_read_b32 v11, v18
	s_waitcnt lgkmcnt(0)
	v_mul_f32_e32 v11, v15, v11
	ds_write_b32 v18, v11
.LBB60_14:                              ;   in Loop: Header=BB60_7 Depth=2
	s_or_b64 exec, exec, s[22:23]
	s_mov_b64 s[22:23], 0
	v_mov_b32_e32 v11, 0
	s_waitcnt lgkmcnt(0)
	s_barrier
	s_branch .LBB60_16
.LBB60_15:                              ;   in Loop: Header=BB60_16 Depth=3
	s_or_b64 exec, exec, s[10:11]
	v_cmp_eq_u32_e64 s[10:11], s28, v11
	s_or_b64 s[22:23], s[10:11], s[22:23]
	s_waitcnt lgkmcnt(0)
	s_barrier
	s_andn2_b64 exec, exec, s[22:23]
	s_cbranch_execz .LBB60_20
.LBB60_16:                              ;   Parent Loop BB60_4 Depth=1
                                        ;     Parent Loop BB60_7 Depth=2
                                        ; =>    This Inner Loop Header: Depth=3
	v_add_u32_e32 v15, 1, v11
	s_and_saveexec_b64 s[10:11], s[6:7]
	s_xor_b64 s[10:11], exec, s[10:11]
; %bb.17:                               ;   in Loop: Header=BB60_16 Depth=3
	v_add_u32_e32 v11, 1, v11
                                        ; implicit-def: $vgpr15
; %bb.18:                               ;   in Loop: Header=BB60_16 Depth=3
	s_andn2_saveexec_b64 s[10:11], s[10:11]
	s_cbranch_execz .LBB60_15
; %bb.19:                               ;   in Loop: Header=BB60_16 Depth=3
	v_lshlrev_b32_e64 v16, v11, 1
	v_lshrrev_b32_e32 v17, v11, v1
	v_bfm_b32 v11, v11, 0
	v_lshl_or_b32 v16, v17, v15, v16
	v_and_b32_e32 v11, v11, v1
	v_lshlrev_b32_e32 v16, 2, v16
	v_lshlrev_b32_e32 v11, 2, v11
	v_add3_u32 v11, v18, v16, v11
	v_add_u32_e32 v16, v13, v16
	ds_read_b32 v17, v11
	ds_read_b32 v16, v16
	s_waitcnt lgkmcnt(0)
	v_mul_f32_e32 v16, v17, v16
	ds_write_b32 v11, v16
	v_mov_b32_e32 v11, v15
	s_branch .LBB60_15
.LBB60_20:                              ;   in Loop: Header=BB60_7 Depth=2
	s_or_b64 exec, exec, s[22:23]
	s_and_saveexec_b64 s[22:23], vcc
	s_cbranch_execz .LBB60_6
; %bb.21:                               ;   in Loop: Header=BB60_7 Depth=2
	v_cmp_gt_u32_e64 s[10:11], s17, v4
	s_and_saveexec_b64 s[24:25], s[10:11]
	s_cbranch_execz .LBB60_23
; %bb.22:                               ;   in Loop: Header=BB60_7 Depth=2
	ds_read_b32 v11, v3
	v_lshl_add_u64 v[16:17], v[4:5], 2, v[8:9]
	s_waitcnt lgkmcnt(0)
	global_store_dword v[16:17], v11, off
.LBB60_23:                              ;   in Loop: Header=BB60_7 Depth=2
	s_or_b64 exec, exec, s[24:25]
	v_cmp_gt_u32_e64 s[10:11], s17, v10
	s_and_b64 exec, exec, s[10:11]
	s_cbranch_execz .LBB60_6
; %bb.24:                               ;   in Loop: Header=BB60_7 Depth=2
	ds_read_b32 v4, v12
	v_mov_b32_e32 v11, v5
	v_lshl_add_u64 v[10:11], v[10:11], 2, v[8:9]
	s_waitcnt lgkmcnt(0)
	global_store_dword v[10:11], v4, off
	s_branch .LBB60_6
.LBB60_25:
	s_mov_b64 s[4:5], 0
.LBB60_26:
	s_andn2_b64 vcc, exec, s[4:5]
	s_cbranch_vccnz .LBB60_53
; %bb.27:
	s_load_dword s3, s[0:1], 0x34
	s_add_u32 s4, s0, 40
	s_mov_b32 s21, 0
	s_addc_u32 s5, s1, 0
	v_mov_b64_e32 v[4:5], s[20:21]
	s_waitcnt lgkmcnt(0)
	s_lshr_b32 s0, s3, 16
	s_mul_hi_u32 s9, s0, s2
	s_mul_i32 s8, s0, s2
	v_cmp_ge_u64_e32 vcc, s[8:9], v[4:5]
	s_cbranch_vccnz .LBB60_53
; %bb.28:
	s_lshl_b32 s10, 1, s18
	s_load_dword s4, s[4:5], 0x0
	s_and_b32 s6, 0xffff, s0
	s_ashr_i32 s11, s10, 31
	s_cmp_lg_u32 s17, 0
	s_mov_b32 s22, s17
	v_and_b32_e32 v0, 0x3ff, v0
	s_cselect_b64 s[2:3], -1, 0
	s_lshl_b64 s[16:17], s[10:11], 1
	v_mov_b32_e32 v3, 0
	v_lshl_add_u32 v19, v0, 2, v18
	s_lshl_b32 s5, s16, 2
	v_cndmask_b32_e64 v4, 0, 1, s[2:3]
	s_mov_b32 s23, s21
	v_mov_b32_e32 v1, v3
	v_lshl_add_u32 v20, s10, 2, v19
	v_cmp_eq_u32_e64 s[0:1], 0, v0
	v_add3_u32 v21, v18, s5, -4
	s_waitcnt lgkmcnt(0)
	s_mul_i32 s33, s4, s6
	s_add_i32 s18, s18, 1
	v_cmp_ne_u32_e64 s[2:3], 1, v4
	v_mov_b64_e32 v[4:5], s[20:21]
	s_branch .LBB60_30
.LBB60_29:                              ;   in Loop: Header=BB60_30 Depth=1
	s_add_u32 s8, s8, s33
	s_addc_u32 s9, s9, 0
	v_cmp_ge_u64_e32 vcc, s[8:9], v[4:5]
	s_cbranch_vccnz .LBB60_53
.LBB60_30:                              ; =>This Loop Header: Depth=1
                                        ;     Child Loop BB60_33 Depth 2
                                        ;       Child Loop BB60_43 Depth 3
	s_and_b64 vcc, exec, s[2:3]
	s_cbranch_vccnz .LBB60_29
; %bb.31:                               ;   in Loop: Header=BB60_30 Depth=1
	v_lshl_add_u64 v[10:11], s[8:9], 0, v[2:3]
	v_mad_u64_u32 v[6:7], s[4:5], v10, s22, 0
	v_mov_b32_e32 v8, v7
	v_mad_u64_u32 v[8:9], s[4:5], v11, s22, v[8:9]
	v_mov_b32_e32 v7, v8
	v_lshlrev_b64 v[8:9], 2, v[6:7]
	v_lshl_add_u64 v[6:7], s[14:15], 0, v[8:9]
	v_lshl_add_u64 v[8:9], s[12:13], 0, v[8:9]
	v_cmp_gt_u64_e64 s[4:5], s[20:21], v[10:11]
	v_cmp_le_u64_e64 s[6:7], s[20:21], v[10:11]
	s_mov_b64 s[24:25], 0
	v_mov_b32_e32 v14, s19
	s_branch .LBB60_33
.LBB60_32:                              ;   in Loop: Header=BB60_33 Depth=2
	s_or_b64 exec, exec, s[26:27]
	ds_read_b32 v14, v21
	s_add_u32 s24, s24, s16
	s_addc_u32 s25, s25, s17
	v_mov_b64_e32 v[10:11], s[22:23]
	v_cmp_ge_u64_e32 vcc, s[24:25], v[10:11]
	s_waitcnt lgkmcnt(0)
	s_barrier
	s_cbranch_vccnz .LBB60_29
.LBB60_33:                              ;   Parent Loop BB60_30 Depth=1
                                        ; =>  This Loop Header: Depth=2
                                        ;       Child Loop BB60_43 Depth 3
	v_lshl_add_u64 v[12:13], s[24:25], 0, v[0:1]
	v_lshl_add_u64 v[10:11], v[12:13], 0, s[10:11]
	s_and_saveexec_b64 s[26:27], s[4:5]
	s_cbranch_execz .LBB60_40
; %bb.34:                               ;   in Loop: Header=BB60_33 Depth=2
	v_cmp_gt_u64_e32 vcc, s[22:23], v[12:13]
	v_mov_b32_e32 v15, s19
	s_and_saveexec_b64 s[28:29], vcc
	s_cbranch_execz .LBB60_36
; %bb.35:                               ;   in Loop: Header=BB60_33 Depth=2
	v_lshl_add_u64 v[16:17], v[12:13], 2, v[6:7]
	global_load_dword v15, v[16:17], off
.LBB60_36:                              ;   in Loop: Header=BB60_33 Depth=2
	s_or_b64 exec, exec, s[28:29]
	s_waitcnt vmcnt(0)
	ds_write_b32 v19, v15
	v_cmp_gt_u64_e32 vcc, s[22:23], v[10:11]
	v_mov_b32_e32 v15, s19
	s_and_saveexec_b64 s[28:29], vcc
	s_cbranch_execz .LBB60_38
; %bb.37:                               ;   in Loop: Header=BB60_33 Depth=2
	v_lshl_add_u64 v[16:17], v[10:11], 2, v[6:7]
	global_load_dword v15, v[16:17], off
.LBB60_38:                              ;   in Loop: Header=BB60_33 Depth=2
	s_or_b64 exec, exec, s[28:29]
	s_waitcnt vmcnt(0)
	ds_write_b32 v20, v15
	s_and_b64 exec, exec, s[0:1]
	s_cbranch_execz .LBB60_40
; %bb.39:                               ;   in Loop: Header=BB60_33 Depth=2
	ds_read_b32 v15, v18
	s_waitcnt lgkmcnt(0)
	v_mul_f32_e32 v14, v14, v15
	ds_write_b32 v18, v14
.LBB60_40:                              ;   in Loop: Header=BB60_33 Depth=2
	s_or_b64 exec, exec, s[26:27]
	s_mov_b64 s[26:27], 0
	v_mov_b32_e32 v23, 0
	s_waitcnt lgkmcnt(0)
	s_barrier
	s_branch .LBB60_43
.LBB60_41:                              ;   in Loop: Header=BB60_43 Depth=3
	s_or_b64 exec, exec, s[30:31]
	v_lshrrev_b32_e32 v15, v23, v0
	v_lshl_or_b32 v14, v15, v22, v14
	v_lshl_add_u32 v14, v14, 2, v18
	v_lshl_add_u32 v15, v16, 2, v14
	v_add_u32_e32 v14, -4, v14
	ds_read_b32 v16, v15
	ds_read_b32 v14, v14
	s_waitcnt lgkmcnt(0)
	v_mul_f32_e32 v14, v16, v14
	ds_write_b32 v15, v14
.LBB60_42:                              ;   in Loop: Header=BB60_43 Depth=3
	s_or_b64 exec, exec, s[28:29]
	v_cmp_eq_u32_e32 vcc, s18, v22
	s_or_b64 s[26:27], vcc, s[26:27]
	v_mov_b32_e32 v23, v22
	s_waitcnt lgkmcnt(0)
	s_barrier
	s_andn2_b64 exec, exec, s[26:27]
	s_cbranch_execz .LBB60_48
.LBB60_43:                              ;   Parent Loop BB60_30 Depth=1
                                        ;     Parent Loop BB60_33 Depth=2
                                        ; =>    This Inner Loop Header: Depth=3
	v_add_u32_e32 v22, 1, v23
	s_and_saveexec_b64 s[28:29], s[6:7]
	s_xor_b64 s[28:29], exec, s[28:29]
; %bb.44:                               ;   in Loop: Header=BB60_43 Depth=3
	v_add_u32_e32 v22, 1, v23
                                        ; implicit-def: $vgpr23
; %bb.45:                               ;   in Loop: Header=BB60_43 Depth=3
	s_andn2_saveexec_b64 s[28:29], s[28:29]
	s_cbranch_execz .LBB60_42
; %bb.46:                               ;   in Loop: Header=BB60_43 Depth=3
	v_lshlrev_b32_e64 v14, v23, 1
	v_ashrrev_i32_e32 v15, 31, v14
	v_cmp_ge_u64_e32 vcc, v[0:1], v[14:15]
	v_mov_b64_e32 v[16:17], v[0:1]
	s_and_saveexec_b64 s[30:31], vcc
	s_cbranch_execz .LBB60_41
; %bb.47:                               ;   in Loop: Header=BB60_43 Depth=3
	v_cvt_f32_u32_e32 v15, v14
	v_sub_u32_e32 v16, 0, v14
	v_rcp_iflag_f32_e32 v15, v15
	s_nop 0
	v_mul_f32_e32 v15, 0x4f7ffffe, v15
	v_cvt_u32_f32_e32 v15, v15
	v_mul_lo_u32 v16, v16, v15
	v_mul_hi_u32 v16, v15, v16
	v_add_u32_e32 v15, v15, v16
	v_mul_hi_u32 v15, v0, v15
	v_mul_lo_u32 v15, v15, v14
	v_sub_u32_e32 v15, v0, v15
	v_sub_u32_e32 v16, v15, v14
	v_cmp_ge_u32_e32 vcc, v15, v14
	s_nop 1
	v_cndmask_b32_e32 v15, v15, v16, vcc
	v_sub_u32_e32 v16, v15, v14
	v_cmp_ge_u32_e32 vcc, v15, v14
	s_nop 1
	v_cndmask_b32_e32 v16, v15, v16, vcc
	s_branch .LBB60_41
.LBB60_48:                              ;   in Loop: Header=BB60_33 Depth=2
	s_or_b64 exec, exec, s[26:27]
	s_and_saveexec_b64 s[26:27], s[4:5]
	s_cbranch_execz .LBB60_32
; %bb.49:                               ;   in Loop: Header=BB60_33 Depth=2
	v_cmp_gt_u64_e32 vcc, s[22:23], v[12:13]
	s_and_saveexec_b64 s[28:29], vcc
	s_cbranch_execz .LBB60_51
; %bb.50:                               ;   in Loop: Header=BB60_33 Depth=2
	ds_read_b32 v14, v19
	v_lshl_add_u64 v[12:13], v[12:13], 2, v[8:9]
	s_waitcnt lgkmcnt(0)
	global_store_dword v[12:13], v14, off
.LBB60_51:                              ;   in Loop: Header=BB60_33 Depth=2
	s_or_b64 exec, exec, s[28:29]
	v_cmp_gt_u64_e32 vcc, s[22:23], v[10:11]
	s_and_b64 exec, exec, vcc
	s_cbranch_execz .LBB60_32
; %bb.52:                               ;   in Loop: Header=BB60_33 Depth=2
	ds_read_b32 v12, v20
	v_lshl_add_u64 v[10:11], v[10:11], 2, v[8:9]
	s_waitcnt lgkmcnt(0)
	global_store_dword v[10:11], v12, off
	s_branch .LBB60_32
.LBB60_53:
	s_endpgm
	.section	.rodata,"a",@progbits
	.p2align	6, 0x0
	.amdhsa_kernel _ZN2at6native32tensor_kernel_scan_innermost_dimIfSt10multipliesIfEEEvPT_PKS4_jjjS4_T0_
		.amdhsa_group_segment_fixed_size 0
		.amdhsa_private_segment_fixed_size 0
		.amdhsa_kernarg_size 296
		.amdhsa_user_sgpr_count 2
		.amdhsa_user_sgpr_dispatch_ptr 0
		.amdhsa_user_sgpr_queue_ptr 0
		.amdhsa_user_sgpr_kernarg_segment_ptr 1
		.amdhsa_user_sgpr_dispatch_id 0
		.amdhsa_user_sgpr_kernarg_preload_length 0
		.amdhsa_user_sgpr_kernarg_preload_offset 0
		.amdhsa_user_sgpr_private_segment_size 0
		.amdhsa_uses_dynamic_stack 0
		.amdhsa_enable_private_segment 0
		.amdhsa_system_sgpr_workgroup_id_x 1
		.amdhsa_system_sgpr_workgroup_id_y 0
		.amdhsa_system_sgpr_workgroup_id_z 0
		.amdhsa_system_sgpr_workgroup_info 0
		.amdhsa_system_vgpr_workitem_id 1
		.amdhsa_next_free_vgpr 24
		.amdhsa_next_free_sgpr 34
		.amdhsa_accum_offset 24
		.amdhsa_reserve_vcc 1
		.amdhsa_float_round_mode_32 0
		.amdhsa_float_round_mode_16_64 0
		.amdhsa_float_denorm_mode_32 3
		.amdhsa_float_denorm_mode_16_64 3
		.amdhsa_dx10_clamp 1
		.amdhsa_ieee_mode 1
		.amdhsa_fp16_overflow 0
		.amdhsa_tg_split 0
		.amdhsa_exception_fp_ieee_invalid_op 0
		.amdhsa_exception_fp_denorm_src 0
		.amdhsa_exception_fp_ieee_div_zero 0
		.amdhsa_exception_fp_ieee_overflow 0
		.amdhsa_exception_fp_ieee_underflow 0
		.amdhsa_exception_fp_ieee_inexact 0
		.amdhsa_exception_int_div_zero 0
	.end_amdhsa_kernel
	.section	.text._ZN2at6native32tensor_kernel_scan_innermost_dimIfSt10multipliesIfEEEvPT_PKS4_jjjS4_T0_,"axG",@progbits,_ZN2at6native32tensor_kernel_scan_innermost_dimIfSt10multipliesIfEEEvPT_PKS4_jjjS4_T0_,comdat
.Lfunc_end60:
	.size	_ZN2at6native32tensor_kernel_scan_innermost_dimIfSt10multipliesIfEEEvPT_PKS4_jjjS4_T0_, .Lfunc_end60-_ZN2at6native32tensor_kernel_scan_innermost_dimIfSt10multipliesIfEEEvPT_PKS4_jjjS4_T0_
                                        ; -- End function
	.section	.AMDGPU.csdata,"",@progbits
; Kernel info:
; codeLenInByte = 1624
; NumSgprs: 40
; NumVgprs: 24
; NumAgprs: 0
; TotalNumVgprs: 24
; ScratchSize: 0
; MemoryBound: 0
; FloatMode: 240
; IeeeMode: 1
; LDSByteSize: 0 bytes/workgroup (compile time only)
; SGPRBlocks: 4
; VGPRBlocks: 2
; NumSGPRsForWavesPerEU: 40
; NumVGPRsForWavesPerEU: 24
; AccumOffset: 24
; Occupancy: 8
; WaveLimiterHint : 0
; COMPUTE_PGM_RSRC2:SCRATCH_EN: 0
; COMPUTE_PGM_RSRC2:USER_SGPR: 2
; COMPUTE_PGM_RSRC2:TRAP_HANDLER: 0
; COMPUTE_PGM_RSRC2:TGID_X_EN: 1
; COMPUTE_PGM_RSRC2:TGID_Y_EN: 0
; COMPUTE_PGM_RSRC2:TGID_Z_EN: 0
; COMPUTE_PGM_RSRC2:TIDIG_COMP_CNT: 1
; COMPUTE_PGM_RSRC3_GFX90A:ACCUM_OFFSET: 5
; COMPUTE_PGM_RSRC3_GFX90A:TG_SPLIT: 0
	.section	.text._ZN2at6native28tensor_kernel_scan_outer_dimIfjSt10multipliesIfEEEvPT_PKS4_jjjS4_T1_,"axG",@progbits,_ZN2at6native28tensor_kernel_scan_outer_dimIfjSt10multipliesIfEEEvPT_PKS4_jjjS4_T1_,comdat
	.protected	_ZN2at6native28tensor_kernel_scan_outer_dimIfjSt10multipliesIfEEEvPT_PKS4_jjjS4_T1_ ; -- Begin function _ZN2at6native28tensor_kernel_scan_outer_dimIfjSt10multipliesIfEEEvPT_PKS4_jjjS4_T1_
	.globl	_ZN2at6native28tensor_kernel_scan_outer_dimIfjSt10multipliesIfEEEvPT_PKS4_jjjS4_T1_
	.p2align	8
	.type	_ZN2at6native28tensor_kernel_scan_outer_dimIfjSt10multipliesIfEEEvPT_PKS4_jjjS4_T1_,@function
_ZN2at6native28tensor_kernel_scan_outer_dimIfjSt10multipliesIfEEEvPT_PKS4_jjjS4_T1_: ; @_ZN2at6native28tensor_kernel_scan_outer_dimIfjSt10multipliesIfEEEvPT_PKS4_jjjS4_T1_
; %bb.0:
	s_load_dwordx4 s[8:11], s[0:1], 0x10
	s_waitcnt lgkmcnt(0)
	s_cmp_ge_u32 s2, s8
	s_cbranch_scc1 .LBB61_9
; %bb.1:
	s_load_dword s4, s[0:1], 0x34
	s_load_dwordx4 s[12:15], s[0:1], 0x0
	s_load_dword s26, s[0:1], 0x28
	s_add_u32 s6, s0, 40
	s_addc_u32 s7, s1, 0
	s_waitcnt lgkmcnt(0)
	s_and_b32 s27, s4, 0xffff
	s_mul_i32 s3, s3, s27
	s_cmp_lg_u32 s10, 0
	v_add_u32_e32 v4, s3, v0
	s_mul_i32 s3, s2, s10
	s_cselect_b64 s[4:5], -1, 0
	s_mov_b32 s17, 0
	s_mov_b32 s16, s9
	s_mul_i32 s20, s3, s9
	s_mul_i32 s3, s26, s10
	v_cndmask_b32_e64 v0, 0, 1, s[4:5]
	v_cmp_gt_u32_e64 s[0:1], s9, v4
	s_mul_i32 s3, s3, s9
	s_lshl_b64 s[18:19], s[16:17], 2
	v_cmp_ne_u32_e64 s[4:5], 1, v0
	v_mov_b32_e32 v1, 0
	s_mov_b32 s16, s20
	s_branch .LBB61_3
.LBB61_2:                               ;   in Loop: Header=BB61_3 Depth=1
	s_or_b64 exec, exec, s[20:21]
	s_add_i32 s2, s26, s2
	s_add_i32 s16, s16, s3
	s_cmp_ge_u32 s2, s8
	s_cbranch_scc1 .LBB61_9
.LBB61_3:                               ; =>This Loop Header: Depth=1
                                        ;     Child Loop BB61_6 Depth 2
                                        ;       Child Loop BB61_8 Depth 3
	s_and_saveexec_b64 s[20:21], s[0:1]
	s_cbranch_execz .LBB61_2
; %bb.4:                                ;   in Loop: Header=BB61_3 Depth=1
	s_load_dword s28, s[6:7], 0x4
	s_lshl_b64 s[22:23], s[16:17], 2
	s_mov_b64 s[24:25], 0
	v_mov_b32_e32 v0, v4
	s_waitcnt lgkmcnt(0)
	s_mul_i32 s28, s28, s27
	s_branch .LBB61_6
.LBB61_5:                               ;   in Loop: Header=BB61_6 Depth=2
	v_add_u32_e32 v0, s28, v0
	v_cmp_le_u32_e32 vcc, s9, v0
	s_or_b64 s[24:25], vcc, s[24:25]
	s_andn2_b64 exec, exec, s[24:25]
	s_cbranch_execz .LBB61_2
.LBB61_6:                               ;   Parent Loop BB61_3 Depth=1
                                        ; =>  This Loop Header: Depth=2
                                        ;       Child Loop BB61_8 Depth 3
	s_and_b64 vcc, exec, s[4:5]
	s_cbranch_vccnz .LBB61_5
; %bb.7:                                ;   in Loop: Header=BB61_6 Depth=2
	v_lshl_add_u64 v[2:3], v[0:1], 2, s[22:23]
	v_mov_b32_e32 v5, s11
	s_mov_b32 s29, s10
.LBB61_8:                               ;   Parent Loop BB61_3 Depth=1
                                        ;     Parent Loop BB61_6 Depth=2
                                        ; =>    This Inner Loop Header: Depth=3
	v_lshl_add_u64 v[6:7], s[14:15], 0, v[2:3]
	global_load_dword v8, v[6:7], off
	s_add_i32 s29, s29, -1
	v_lshl_add_u64 v[6:7], s[12:13], 0, v[2:3]
	v_lshl_add_u64 v[2:3], v[2:3], 0, s[18:19]
	s_cmp_eq_u32 s29, 0
	s_waitcnt vmcnt(0)
	v_mul_f32_e32 v5, v5, v8
	global_store_dword v[6:7], v5, off
	s_cbranch_scc0 .LBB61_8
	s_branch .LBB61_5
.LBB61_9:
	s_endpgm
	.section	.rodata,"a",@progbits
	.p2align	6, 0x0
	.amdhsa_kernel _ZN2at6native28tensor_kernel_scan_outer_dimIfjSt10multipliesIfEEEvPT_PKS4_jjjS4_T1_
		.amdhsa_group_segment_fixed_size 0
		.amdhsa_private_segment_fixed_size 0
		.amdhsa_kernarg_size 296
		.amdhsa_user_sgpr_count 2
		.amdhsa_user_sgpr_dispatch_ptr 0
		.amdhsa_user_sgpr_queue_ptr 0
		.amdhsa_user_sgpr_kernarg_segment_ptr 1
		.amdhsa_user_sgpr_dispatch_id 0
		.amdhsa_user_sgpr_kernarg_preload_length 0
		.amdhsa_user_sgpr_kernarg_preload_offset 0
		.amdhsa_user_sgpr_private_segment_size 0
		.amdhsa_uses_dynamic_stack 0
		.amdhsa_enable_private_segment 0
		.amdhsa_system_sgpr_workgroup_id_x 1
		.amdhsa_system_sgpr_workgroup_id_y 1
		.amdhsa_system_sgpr_workgroup_id_z 0
		.amdhsa_system_sgpr_workgroup_info 0
		.amdhsa_system_vgpr_workitem_id 0
		.amdhsa_next_free_vgpr 9
		.amdhsa_next_free_sgpr 30
		.amdhsa_accum_offset 12
		.amdhsa_reserve_vcc 1
		.amdhsa_float_round_mode_32 0
		.amdhsa_float_round_mode_16_64 0
		.amdhsa_float_denorm_mode_32 3
		.amdhsa_float_denorm_mode_16_64 3
		.amdhsa_dx10_clamp 1
		.amdhsa_ieee_mode 1
		.amdhsa_fp16_overflow 0
		.amdhsa_tg_split 0
		.amdhsa_exception_fp_ieee_invalid_op 0
		.amdhsa_exception_fp_denorm_src 0
		.amdhsa_exception_fp_ieee_div_zero 0
		.amdhsa_exception_fp_ieee_overflow 0
		.amdhsa_exception_fp_ieee_underflow 0
		.amdhsa_exception_fp_ieee_inexact 0
		.amdhsa_exception_int_div_zero 0
	.end_amdhsa_kernel
	.section	.text._ZN2at6native28tensor_kernel_scan_outer_dimIfjSt10multipliesIfEEEvPT_PKS4_jjjS4_T1_,"axG",@progbits,_ZN2at6native28tensor_kernel_scan_outer_dimIfjSt10multipliesIfEEEvPT_PKS4_jjjS4_T1_,comdat
.Lfunc_end61:
	.size	_ZN2at6native28tensor_kernel_scan_outer_dimIfjSt10multipliesIfEEEvPT_PKS4_jjjS4_T1_, .Lfunc_end61-_ZN2at6native28tensor_kernel_scan_outer_dimIfjSt10multipliesIfEEEvPT_PKS4_jjjS4_T1_
                                        ; -- End function
	.section	.AMDGPU.csdata,"",@progbits
; Kernel info:
; codeLenInByte = 316
; NumSgprs: 36
; NumVgprs: 9
; NumAgprs: 0
; TotalNumVgprs: 9
; ScratchSize: 0
; MemoryBound: 0
; FloatMode: 240
; IeeeMode: 1
; LDSByteSize: 0 bytes/workgroup (compile time only)
; SGPRBlocks: 4
; VGPRBlocks: 1
; NumSGPRsForWavesPerEU: 36
; NumVGPRsForWavesPerEU: 9
; AccumOffset: 12
; Occupancy: 8
; WaveLimiterHint : 0
; COMPUTE_PGM_RSRC2:SCRATCH_EN: 0
; COMPUTE_PGM_RSRC2:USER_SGPR: 2
; COMPUTE_PGM_RSRC2:TRAP_HANDLER: 0
; COMPUTE_PGM_RSRC2:TGID_X_EN: 1
; COMPUTE_PGM_RSRC2:TGID_Y_EN: 1
; COMPUTE_PGM_RSRC2:TGID_Z_EN: 0
; COMPUTE_PGM_RSRC2:TIDIG_COMP_CNT: 0
; COMPUTE_PGM_RSRC3_GFX90A:ACCUM_OFFSET: 2
; COMPUTE_PGM_RSRC3_GFX90A:TG_SPLIT: 0
	.section	.text._ZN2at6native28tensor_kernel_scan_outer_dimIfmSt10multipliesIfEEEvPT_PKS4_jjjS4_T1_,"axG",@progbits,_ZN2at6native28tensor_kernel_scan_outer_dimIfmSt10multipliesIfEEEvPT_PKS4_jjjS4_T1_,comdat
	.protected	_ZN2at6native28tensor_kernel_scan_outer_dimIfmSt10multipliesIfEEEvPT_PKS4_jjjS4_T1_ ; -- Begin function _ZN2at6native28tensor_kernel_scan_outer_dimIfmSt10multipliesIfEEEvPT_PKS4_jjjS4_T1_
	.globl	_ZN2at6native28tensor_kernel_scan_outer_dimIfmSt10multipliesIfEEEvPT_PKS4_jjjS4_T1_
	.p2align	8
	.type	_ZN2at6native28tensor_kernel_scan_outer_dimIfmSt10multipliesIfEEEvPT_PKS4_jjjS4_T1_,@function
_ZN2at6native28tensor_kernel_scan_outer_dimIfmSt10multipliesIfEEEvPT_PKS4_jjjS4_T1_: ; @_ZN2at6native28tensor_kernel_scan_outer_dimIfmSt10multipliesIfEEEvPT_PKS4_jjjS4_T1_
; %bb.0:
	s_load_dwordx4 s[8:11], s[0:1], 0x10
	s_waitcnt lgkmcnt(0)
	s_cmp_ge_u32 s2, s8
	s_cbranch_scc1 .LBB62_9
; %bb.1:
	s_load_dword s4, s[0:1], 0x34
	s_load_dwordx4 s[12:15], s[0:1], 0x0
	s_load_dword s26, s[0:1], 0x28
	s_add_u32 s6, s0, 40
	s_addc_u32 s7, s1, 0
	s_waitcnt lgkmcnt(0)
	s_and_b32 s27, s4, 0xffff
	s_cmp_lg_u32 s10, 0
	s_mul_i32 s3, s3, s27
	s_cselect_b64 s[20:21], -1, 0
	v_add_u32_e32 v4, s3, v0
	s_mov_b32 s5, 0
	s_mov_b32 s4, s9
	s_mul_hi_u32 s17, s10, s9
	s_mul_i32 s16, s10, s9
	v_cndmask_b32_e64 v0, 0, 1, s[20:21]
	v_cmp_gt_u32_e64 s[0:1], s9, v4
	s_lshl_b64 s[16:17], s[16:17], 2
	s_lshl_b64 s[18:19], s[4:5], 2
	v_cmp_ne_u32_e64 s[4:5], 1, v0
	v_mov_b32_e32 v1, 0
	s_branch .LBB62_3
.LBB62_2:                               ;   in Loop: Header=BB62_3 Depth=1
	s_or_b64 exec, exec, s[20:21]
	s_add_i32 s2, s2, s26
	s_cmp_ge_u32 s2, s8
	s_cbranch_scc1 .LBB62_9
.LBB62_3:                               ; =>This Loop Header: Depth=1
                                        ;     Child Loop BB62_6 Depth 2
                                        ;       Child Loop BB62_8 Depth 3
	s_and_saveexec_b64 s[20:21], s[0:1]
	s_cbranch_execz .LBB62_2
; %bb.4:                                ;   in Loop: Header=BB62_3 Depth=1
	s_load_dword s3, s[6:7], 0x4
	s_mul_i32 s23, s17, s2
	s_mul_hi_u32 s24, s16, s2
	s_mul_i32 s22, s16, s2
	s_add_i32 s23, s24, s23
	s_waitcnt lgkmcnt(0)
	s_mul_i32 s3, s3, s27
	s_mov_b64 s[24:25], 0
	v_mov_b32_e32 v0, v4
	s_branch .LBB62_6
.LBB62_5:                               ;   in Loop: Header=BB62_6 Depth=2
	v_add_u32_e32 v0, s3, v0
	v_cmp_le_u32_e32 vcc, s9, v0
	s_or_b64 s[24:25], vcc, s[24:25]
	s_andn2_b64 exec, exec, s[24:25]
	s_cbranch_execz .LBB62_2
.LBB62_6:                               ;   Parent Loop BB62_3 Depth=1
                                        ; =>  This Loop Header: Depth=2
                                        ;       Child Loop BB62_8 Depth 3
	s_and_b64 vcc, exec, s[4:5]
	s_cbranch_vccnz .LBB62_5
; %bb.7:                                ;   in Loop: Header=BB62_6 Depth=2
	v_lshl_add_u64 v[2:3], v[0:1], 2, s[22:23]
	v_mov_b32_e32 v5, s11
	s_mov_b32 s28, s10
.LBB62_8:                               ;   Parent Loop BB62_3 Depth=1
                                        ;     Parent Loop BB62_6 Depth=2
                                        ; =>    This Inner Loop Header: Depth=3
	v_lshl_add_u64 v[6:7], s[14:15], 0, v[2:3]
	global_load_dword v8, v[6:7], off
	s_add_i32 s28, s28, -1
	v_lshl_add_u64 v[6:7], s[12:13], 0, v[2:3]
	v_lshl_add_u64 v[2:3], v[2:3], 0, s[18:19]
	s_cmp_eq_u32 s28, 0
	s_waitcnt vmcnt(0)
	v_mul_f32_e32 v5, v5, v8
	global_store_dword v[6:7], v5, off
	s_cbranch_scc0 .LBB62_8
	s_branch .LBB62_5
.LBB62_9:
	s_endpgm
	.section	.rodata,"a",@progbits
	.p2align	6, 0x0
	.amdhsa_kernel _ZN2at6native28tensor_kernel_scan_outer_dimIfmSt10multipliesIfEEEvPT_PKS4_jjjS4_T1_
		.amdhsa_group_segment_fixed_size 0
		.amdhsa_private_segment_fixed_size 0
		.amdhsa_kernarg_size 296
		.amdhsa_user_sgpr_count 2
		.amdhsa_user_sgpr_dispatch_ptr 0
		.amdhsa_user_sgpr_queue_ptr 0
		.amdhsa_user_sgpr_kernarg_segment_ptr 1
		.amdhsa_user_sgpr_dispatch_id 0
		.amdhsa_user_sgpr_kernarg_preload_length 0
		.amdhsa_user_sgpr_kernarg_preload_offset 0
		.amdhsa_user_sgpr_private_segment_size 0
		.amdhsa_uses_dynamic_stack 0
		.amdhsa_enable_private_segment 0
		.amdhsa_system_sgpr_workgroup_id_x 1
		.amdhsa_system_sgpr_workgroup_id_y 1
		.amdhsa_system_sgpr_workgroup_id_z 0
		.amdhsa_system_sgpr_workgroup_info 0
		.amdhsa_system_vgpr_workitem_id 0
		.amdhsa_next_free_vgpr 9
		.amdhsa_next_free_sgpr 29
		.amdhsa_accum_offset 12
		.amdhsa_reserve_vcc 1
		.amdhsa_float_round_mode_32 0
		.amdhsa_float_round_mode_16_64 0
		.amdhsa_float_denorm_mode_32 3
		.amdhsa_float_denorm_mode_16_64 3
		.amdhsa_dx10_clamp 1
		.amdhsa_ieee_mode 1
		.amdhsa_fp16_overflow 0
		.amdhsa_tg_split 0
		.amdhsa_exception_fp_ieee_invalid_op 0
		.amdhsa_exception_fp_denorm_src 0
		.amdhsa_exception_fp_ieee_div_zero 0
		.amdhsa_exception_fp_ieee_overflow 0
		.amdhsa_exception_fp_ieee_underflow 0
		.amdhsa_exception_fp_ieee_inexact 0
		.amdhsa_exception_int_div_zero 0
	.end_amdhsa_kernel
	.section	.text._ZN2at6native28tensor_kernel_scan_outer_dimIfmSt10multipliesIfEEEvPT_PKS4_jjjS4_T1_,"axG",@progbits,_ZN2at6native28tensor_kernel_scan_outer_dimIfmSt10multipliesIfEEEvPT_PKS4_jjjS4_T1_,comdat
.Lfunc_end62:
	.size	_ZN2at6native28tensor_kernel_scan_outer_dimIfmSt10multipliesIfEEEvPT_PKS4_jjjS4_T1_, .Lfunc_end62-_ZN2at6native28tensor_kernel_scan_outer_dimIfmSt10multipliesIfEEEvPT_PKS4_jjjS4_T1_
                                        ; -- End function
	.section	.AMDGPU.csdata,"",@progbits
; Kernel info:
; codeLenInByte = 316
; NumSgprs: 35
; NumVgprs: 9
; NumAgprs: 0
; TotalNumVgprs: 9
; ScratchSize: 0
; MemoryBound: 0
; FloatMode: 240
; IeeeMode: 1
; LDSByteSize: 0 bytes/workgroup (compile time only)
; SGPRBlocks: 4
; VGPRBlocks: 1
; NumSGPRsForWavesPerEU: 35
; NumVGPRsForWavesPerEU: 9
; AccumOffset: 12
; Occupancy: 8
; WaveLimiterHint : 0
; COMPUTE_PGM_RSRC2:SCRATCH_EN: 0
; COMPUTE_PGM_RSRC2:USER_SGPR: 2
; COMPUTE_PGM_RSRC2:TRAP_HANDLER: 0
; COMPUTE_PGM_RSRC2:TGID_X_EN: 1
; COMPUTE_PGM_RSRC2:TGID_Y_EN: 1
; COMPUTE_PGM_RSRC2:TGID_Z_EN: 0
; COMPUTE_PGM_RSRC2:TIDIG_COMP_CNT: 0
; COMPUTE_PGM_RSRC3_GFX90A:ACCUM_OFFSET: 2
; COMPUTE_PGM_RSRC3_GFX90A:TG_SPLIT: 0
	.section	.text._ZN7rocprim17ROCPRIM_304000_NS6detail31init_lookback_scan_state_kernelINS1_19lookback_scan_stateIN3c107complexIdEELb1ELb0EEEEEvT_jjPNS8_10value_typeE,"axG",@progbits,_ZN7rocprim17ROCPRIM_304000_NS6detail31init_lookback_scan_state_kernelINS1_19lookback_scan_stateIN3c107complexIdEELb1ELb0EEEEEvT_jjPNS8_10value_typeE,comdat
	.protected	_ZN7rocprim17ROCPRIM_304000_NS6detail31init_lookback_scan_state_kernelINS1_19lookback_scan_stateIN3c107complexIdEELb1ELb0EEEEEvT_jjPNS8_10value_typeE ; -- Begin function _ZN7rocprim17ROCPRIM_304000_NS6detail31init_lookback_scan_state_kernelINS1_19lookback_scan_stateIN3c107complexIdEELb1ELb0EEEEEvT_jjPNS8_10value_typeE
	.globl	_ZN7rocprim17ROCPRIM_304000_NS6detail31init_lookback_scan_state_kernelINS1_19lookback_scan_stateIN3c107complexIdEELb1ELb0EEEEEvT_jjPNS8_10value_typeE
	.p2align	8
	.type	_ZN7rocprim17ROCPRIM_304000_NS6detail31init_lookback_scan_state_kernelINS1_19lookback_scan_stateIN3c107complexIdEELb1ELb0EEEEEvT_jjPNS8_10value_typeE,@function
_ZN7rocprim17ROCPRIM_304000_NS6detail31init_lookback_scan_state_kernelINS1_19lookback_scan_stateIN3c107complexIdEELb1ELb0EEEEEvT_jjPNS8_10value_typeE: ; @_ZN7rocprim17ROCPRIM_304000_NS6detail31init_lookback_scan_state_kernelINS1_19lookback_scan_stateIN3c107complexIdEELb1ELb0EEEEEvT_jjPNS8_10value_typeE
; %bb.0:
	s_load_dword s3, s[0:1], 0x34
	s_load_dwordx2 s[8:9], s[0:1], 0x20
	s_load_dwordx4 s[4:7], s[0:1], 0x10
	s_waitcnt lgkmcnt(0)
	s_and_b32 s3, s3, 0xffff
	s_mul_i32 s2, s2, s3
	s_cmp_eq_u64 s[8:9], 0
	v_add_u32_e32 v0, s2, v0
	s_cbranch_scc1 .LBB63_11
; %bb.1:
	s_cmp_lt_u32 s7, s6
	s_cselect_b32 s2, s7, 0
	s_mov_b32 s13, 0
	v_cmp_eq_u32_e32 vcc, s2, v0
	s_and_saveexec_b64 s[10:11], vcc
	s_cbranch_execz .LBB63_10
; %bb.2:
	s_add_i32 s12, s7, 64
	v_mov_b32_e32 v1, s12
	global_load_ubyte v1, v1, s[4:5] sc1
	s_load_dwordx4 s[0:3], s[0:1], 0x0
	s_add_u32 s14, s4, s12
	s_addc_u32 s15, s5, 0
	s_waitcnt vmcnt(0)
	v_cmp_ne_u16_e32 vcc, 0, v1
	v_readfirstlane_b32 s7, v1
	s_cbranch_vccz .LBB63_4
; %bb.3:
	s_and_b32 s7, 0xffff, s7
	s_branch .LBB63_9
.LBB63_4:
	s_mov_b32 s7, 1
	v_mov_b32_e32 v1, 0
.LBB63_5:                               ; =>This Loop Header: Depth=1
                                        ;     Child Loop BB63_6 Depth 2
	s_max_u32 s16, s7, 1
.LBB63_6:                               ;   Parent Loop BB63_5 Depth=1
                                        ; =>  This Inner Loop Header: Depth=2
	s_add_i32 s16, s16, -1
	s_cmp_eq_u32 s16, 0
	s_sleep 1
	s_cbranch_scc0 .LBB63_6
; %bb.7:                                ;   in Loop: Header=BB63_5 Depth=1
	global_load_ubyte v2, v1, s[14:15] sc1
	s_cmp_lt_u32 s7, 32
	s_cselect_b64 s[16:17], -1, 0
	s_cmp_lg_u64 s[16:17], 0
	s_addc_u32 s7, s7, 0
	s_waitcnt vmcnt(0)
	v_cmp_ne_u16_e32 vcc, 0, v2
	v_readfirstlane_b32 s16, v2
	s_cbranch_vccz .LBB63_5
; %bb.8:
	s_and_b32 s7, 0xffff, s16
.LBB63_9:
	s_cmp_eq_u32 s7, 1
	s_waitcnt lgkmcnt(0)
	s_cselect_b32 s3, s1, s3
	s_cselect_b32 s2, s0, s2
	s_lshl_b64 s[0:1], s[12:13], 4
	s_add_u32 s0, s2, s0
	s_addc_u32 s1, s3, s1
	v_mov_b32_e32 v1, 0
	s_waitcnt vmcnt(0)
	global_load_dword v2, v1, s[0:1] sc1
	global_load_dword v3, v1, s[0:1] offset:4 sc1
	global_load_dword v4, v1, s[0:1] offset:8 sc1
	;; [unrolled: 1-line block ×3, first 2 shown]
	s_waitcnt vmcnt(0)
	global_store_dwordx4 v1, v[2:5], s[8:9]
.LBB63_10:
	s_or_b64 exec, exec, s[10:11]
.LBB63_11:
	v_cmp_gt_u32_e32 vcc, s6, v0
	s_and_saveexec_b64 s[0:1], vcc
	s_cbranch_execnz .LBB63_14
; %bb.12:
	s_or_b64 exec, exec, s[0:1]
	v_cmp_gt_u32_e32 vcc, 64, v0
	s_and_saveexec_b64 s[0:1], vcc
	s_cbranch_execnz .LBB63_15
.LBB63_13:
	s_endpgm
.LBB63_14:
	v_add_u32_e32 v1, 64, v0
	v_mov_b32_e32 v2, 0
	global_store_byte v1, v2, s[4:5]
	s_or_b64 exec, exec, s[0:1]
	v_cmp_gt_u32_e32 vcc, 64, v0
	s_and_saveexec_b64 s[0:1], vcc
	s_cbranch_execz .LBB63_13
.LBB63_15:
	v_mov_b32_e32 v1, 0xff
	global_store_byte v0, v1, s[4:5]
	s_endpgm
	.section	.rodata,"a",@progbits
	.p2align	6, 0x0
	.amdhsa_kernel _ZN7rocprim17ROCPRIM_304000_NS6detail31init_lookback_scan_state_kernelINS1_19lookback_scan_stateIN3c107complexIdEELb1ELb0EEEEEvT_jjPNS8_10value_typeE
		.amdhsa_group_segment_fixed_size 0
		.amdhsa_private_segment_fixed_size 0
		.amdhsa_kernarg_size 296
		.amdhsa_user_sgpr_count 2
		.amdhsa_user_sgpr_dispatch_ptr 0
		.amdhsa_user_sgpr_queue_ptr 0
		.amdhsa_user_sgpr_kernarg_segment_ptr 1
		.amdhsa_user_sgpr_dispatch_id 0
		.amdhsa_user_sgpr_kernarg_preload_length 0
		.amdhsa_user_sgpr_kernarg_preload_offset 0
		.amdhsa_user_sgpr_private_segment_size 0
		.amdhsa_uses_dynamic_stack 0
		.amdhsa_enable_private_segment 0
		.amdhsa_system_sgpr_workgroup_id_x 1
		.amdhsa_system_sgpr_workgroup_id_y 0
		.amdhsa_system_sgpr_workgroup_id_z 0
		.amdhsa_system_sgpr_workgroup_info 0
		.amdhsa_system_vgpr_workitem_id 0
		.amdhsa_next_free_vgpr 6
		.amdhsa_next_free_sgpr 18
		.amdhsa_accum_offset 8
		.amdhsa_reserve_vcc 1
		.amdhsa_float_round_mode_32 0
		.amdhsa_float_round_mode_16_64 0
		.amdhsa_float_denorm_mode_32 3
		.amdhsa_float_denorm_mode_16_64 3
		.amdhsa_dx10_clamp 1
		.amdhsa_ieee_mode 1
		.amdhsa_fp16_overflow 0
		.amdhsa_tg_split 0
		.amdhsa_exception_fp_ieee_invalid_op 0
		.amdhsa_exception_fp_denorm_src 0
		.amdhsa_exception_fp_ieee_div_zero 0
		.amdhsa_exception_fp_ieee_overflow 0
		.amdhsa_exception_fp_ieee_underflow 0
		.amdhsa_exception_fp_ieee_inexact 0
		.amdhsa_exception_int_div_zero 0
	.end_amdhsa_kernel
	.section	.text._ZN7rocprim17ROCPRIM_304000_NS6detail31init_lookback_scan_state_kernelINS1_19lookback_scan_stateIN3c107complexIdEELb1ELb0EEEEEvT_jjPNS8_10value_typeE,"axG",@progbits,_ZN7rocprim17ROCPRIM_304000_NS6detail31init_lookback_scan_state_kernelINS1_19lookback_scan_stateIN3c107complexIdEELb1ELb0EEEEEvT_jjPNS8_10value_typeE,comdat
.Lfunc_end63:
	.size	_ZN7rocprim17ROCPRIM_304000_NS6detail31init_lookback_scan_state_kernelINS1_19lookback_scan_stateIN3c107complexIdEELb1ELb0EEEEEvT_jjPNS8_10value_typeE, .Lfunc_end63-_ZN7rocprim17ROCPRIM_304000_NS6detail31init_lookback_scan_state_kernelINS1_19lookback_scan_stateIN3c107complexIdEELb1ELb0EEEEEvT_jjPNS8_10value_typeE
                                        ; -- End function
	.section	.AMDGPU.csdata,"",@progbits
; Kernel info:
; codeLenInByte = 380
; NumSgprs: 24
; NumVgprs: 6
; NumAgprs: 0
; TotalNumVgprs: 6
; ScratchSize: 0
; MemoryBound: 0
; FloatMode: 240
; IeeeMode: 1
; LDSByteSize: 0 bytes/workgroup (compile time only)
; SGPRBlocks: 2
; VGPRBlocks: 0
; NumSGPRsForWavesPerEU: 24
; NumVGPRsForWavesPerEU: 6
; AccumOffset: 8
; Occupancy: 8
; WaveLimiterHint : 0
; COMPUTE_PGM_RSRC2:SCRATCH_EN: 0
; COMPUTE_PGM_RSRC2:USER_SGPR: 2
; COMPUTE_PGM_RSRC2:TRAP_HANDLER: 0
; COMPUTE_PGM_RSRC2:TGID_X_EN: 1
; COMPUTE_PGM_RSRC2:TGID_Y_EN: 0
; COMPUTE_PGM_RSRC2:TGID_Z_EN: 0
; COMPUTE_PGM_RSRC2:TIDIG_COMP_CNT: 0
; COMPUTE_PGM_RSRC3_GFX90A:ACCUM_OFFSET: 1
; COMPUTE_PGM_RSRC3_GFX90A:TG_SPLIT: 0
	.section	.text._ZN7rocprim17ROCPRIM_304000_NS6detail31init_lookback_scan_state_kernelINS1_19lookback_scan_stateIN3c107complexIdEELb0ELb0EEEEEvT_jjPNS8_10value_typeE,"axG",@progbits,_ZN7rocprim17ROCPRIM_304000_NS6detail31init_lookback_scan_state_kernelINS1_19lookback_scan_stateIN3c107complexIdEELb0ELb0EEEEEvT_jjPNS8_10value_typeE,comdat
	.protected	_ZN7rocprim17ROCPRIM_304000_NS6detail31init_lookback_scan_state_kernelINS1_19lookback_scan_stateIN3c107complexIdEELb0ELb0EEEEEvT_jjPNS8_10value_typeE ; -- Begin function _ZN7rocprim17ROCPRIM_304000_NS6detail31init_lookback_scan_state_kernelINS1_19lookback_scan_stateIN3c107complexIdEELb0ELb0EEEEEvT_jjPNS8_10value_typeE
	.globl	_ZN7rocprim17ROCPRIM_304000_NS6detail31init_lookback_scan_state_kernelINS1_19lookback_scan_stateIN3c107complexIdEELb0ELb0EEEEEvT_jjPNS8_10value_typeE
	.p2align	8
	.type	_ZN7rocprim17ROCPRIM_304000_NS6detail31init_lookback_scan_state_kernelINS1_19lookback_scan_stateIN3c107complexIdEELb0ELb0EEEEEvT_jjPNS8_10value_typeE,@function
_ZN7rocprim17ROCPRIM_304000_NS6detail31init_lookback_scan_state_kernelINS1_19lookback_scan_stateIN3c107complexIdEELb0ELb0EEEEEvT_jjPNS8_10value_typeE: ; @_ZN7rocprim17ROCPRIM_304000_NS6detail31init_lookback_scan_state_kernelINS1_19lookback_scan_stateIN3c107complexIdEELb0ELb0EEEEEvT_jjPNS8_10value_typeE
; %bb.0:
	s_load_dword s3, s[0:1], 0x34
	s_load_dwordx2 s[8:9], s[0:1], 0x20
	s_load_dwordx4 s[4:7], s[0:1], 0x10
	s_waitcnt lgkmcnt(0)
	s_and_b32 s3, s3, 0xffff
	s_mul_i32 s2, s2, s3
	s_cmp_eq_u64 s[8:9], 0
	v_add_u32_e32 v0, s2, v0
	s_cbranch_scc1 .LBB64_7
; %bb.1:
	s_cmp_lt_u32 s7, s6
	s_cselect_b32 s2, s7, 0
	s_mov_b32 s13, 0
	v_cmp_eq_u32_e32 vcc, s2, v0
	s_and_saveexec_b64 s[10:11], vcc
	s_cbranch_execz .LBB64_6
; %bb.2:
	s_add_i32 s12, s7, 64
	v_mov_b32_e32 v1, s12
	global_load_ubyte v1, v1, s[4:5] sc1
	s_load_dwordx4 s[0:3], s[0:1], 0x0
	s_add_u32 s14, s4, s12
	s_addc_u32 s15, s5, 0
	s_waitcnt vmcnt(0)
	v_cmp_ne_u16_e32 vcc, 0, v1
	v_readfirstlane_b32 s7, v1
	s_cbranch_vccnz .LBB64_5
; %bb.3:
	v_mov_b32_e32 v1, 0
.LBB64_4:                               ; =>This Inner Loop Header: Depth=1
	global_load_ubyte v2, v1, s[14:15] sc1
	s_waitcnt vmcnt(0)
	v_cmp_eq_u16_e32 vcc, 0, v2
	v_readfirstlane_b32 s7, v2
	s_cbranch_vccnz .LBB64_4
.LBB64_5:
	s_and_b32 s7, 0xffff, s7
	s_cmp_eq_u32 s7, 1
	s_waitcnt lgkmcnt(0)
	s_cselect_b32 s3, s1, s3
	s_cselect_b32 s2, s0, s2
	s_lshl_b64 s[0:1], s[12:13], 4
	s_add_u32 s0, s2, s0
	s_addc_u32 s1, s3, s1
	v_mov_b32_e32 v1, 0
	s_waitcnt vmcnt(0)
	global_load_dword v2, v1, s[0:1] sc1
	global_load_dword v3, v1, s[0:1] offset:4 sc1
	global_load_dword v4, v1, s[0:1] offset:8 sc1
	;; [unrolled: 1-line block ×3, first 2 shown]
	s_waitcnt vmcnt(0)
	global_store_dwordx4 v1, v[2:5], s[8:9]
.LBB64_6:
	s_or_b64 exec, exec, s[10:11]
.LBB64_7:
	v_cmp_gt_u32_e32 vcc, s6, v0
	s_and_saveexec_b64 s[0:1], vcc
	s_cbranch_execnz .LBB64_10
; %bb.8:
	s_or_b64 exec, exec, s[0:1]
	v_cmp_gt_u32_e32 vcc, 64, v0
	s_and_saveexec_b64 s[0:1], vcc
	s_cbranch_execnz .LBB64_11
.LBB64_9:
	s_endpgm
.LBB64_10:
	v_add_u32_e32 v1, 64, v0
	v_mov_b32_e32 v2, 0
	global_store_byte v1, v2, s[4:5]
	s_or_b64 exec, exec, s[0:1]
	v_cmp_gt_u32_e32 vcc, 64, v0
	s_and_saveexec_b64 s[0:1], vcc
	s_cbranch_execz .LBB64_9
.LBB64_11:
	v_mov_b32_e32 v1, 0xff
	global_store_byte v0, v1, s[4:5]
	s_endpgm
	.section	.rodata,"a",@progbits
	.p2align	6, 0x0
	.amdhsa_kernel _ZN7rocprim17ROCPRIM_304000_NS6detail31init_lookback_scan_state_kernelINS1_19lookback_scan_stateIN3c107complexIdEELb0ELb0EEEEEvT_jjPNS8_10value_typeE
		.amdhsa_group_segment_fixed_size 0
		.amdhsa_private_segment_fixed_size 0
		.amdhsa_kernarg_size 296
		.amdhsa_user_sgpr_count 2
		.amdhsa_user_sgpr_dispatch_ptr 0
		.amdhsa_user_sgpr_queue_ptr 0
		.amdhsa_user_sgpr_kernarg_segment_ptr 1
		.amdhsa_user_sgpr_dispatch_id 0
		.amdhsa_user_sgpr_kernarg_preload_length 0
		.amdhsa_user_sgpr_kernarg_preload_offset 0
		.amdhsa_user_sgpr_private_segment_size 0
		.amdhsa_uses_dynamic_stack 0
		.amdhsa_enable_private_segment 0
		.amdhsa_system_sgpr_workgroup_id_x 1
		.amdhsa_system_sgpr_workgroup_id_y 0
		.amdhsa_system_sgpr_workgroup_id_z 0
		.amdhsa_system_sgpr_workgroup_info 0
		.amdhsa_system_vgpr_workitem_id 0
		.amdhsa_next_free_vgpr 6
		.amdhsa_next_free_sgpr 16
		.amdhsa_accum_offset 8
		.amdhsa_reserve_vcc 1
		.amdhsa_float_round_mode_32 0
		.amdhsa_float_round_mode_16_64 0
		.amdhsa_float_denorm_mode_32 3
		.amdhsa_float_denorm_mode_16_64 3
		.amdhsa_dx10_clamp 1
		.amdhsa_ieee_mode 1
		.amdhsa_fp16_overflow 0
		.amdhsa_tg_split 0
		.amdhsa_exception_fp_ieee_invalid_op 0
		.amdhsa_exception_fp_denorm_src 0
		.amdhsa_exception_fp_ieee_div_zero 0
		.amdhsa_exception_fp_ieee_overflow 0
		.amdhsa_exception_fp_ieee_underflow 0
		.amdhsa_exception_fp_ieee_inexact 0
		.amdhsa_exception_int_div_zero 0
	.end_amdhsa_kernel
	.section	.text._ZN7rocprim17ROCPRIM_304000_NS6detail31init_lookback_scan_state_kernelINS1_19lookback_scan_stateIN3c107complexIdEELb0ELb0EEEEEvT_jjPNS8_10value_typeE,"axG",@progbits,_ZN7rocprim17ROCPRIM_304000_NS6detail31init_lookback_scan_state_kernelINS1_19lookback_scan_stateIN3c107complexIdEELb0ELb0EEEEEvT_jjPNS8_10value_typeE,comdat
.Lfunc_end64:
	.size	_ZN7rocprim17ROCPRIM_304000_NS6detail31init_lookback_scan_state_kernelINS1_19lookback_scan_stateIN3c107complexIdEELb0ELb0EEEEEvT_jjPNS8_10value_typeE, .Lfunc_end64-_ZN7rocprim17ROCPRIM_304000_NS6detail31init_lookback_scan_state_kernelINS1_19lookback_scan_stateIN3c107complexIdEELb0ELb0EEEEEvT_jjPNS8_10value_typeE
                                        ; -- End function
	.section	.AMDGPU.csdata,"",@progbits
; Kernel info:
; codeLenInByte = 328
; NumSgprs: 22
; NumVgprs: 6
; NumAgprs: 0
; TotalNumVgprs: 6
; ScratchSize: 0
; MemoryBound: 0
; FloatMode: 240
; IeeeMode: 1
; LDSByteSize: 0 bytes/workgroup (compile time only)
; SGPRBlocks: 2
; VGPRBlocks: 0
; NumSGPRsForWavesPerEU: 22
; NumVGPRsForWavesPerEU: 6
; AccumOffset: 8
; Occupancy: 8
; WaveLimiterHint : 0
; COMPUTE_PGM_RSRC2:SCRATCH_EN: 0
; COMPUTE_PGM_RSRC2:USER_SGPR: 2
; COMPUTE_PGM_RSRC2:TRAP_HANDLER: 0
; COMPUTE_PGM_RSRC2:TGID_X_EN: 1
; COMPUTE_PGM_RSRC2:TGID_Y_EN: 0
; COMPUTE_PGM_RSRC2:TGID_Z_EN: 0
; COMPUTE_PGM_RSRC2:TIDIG_COMP_CNT: 0
; COMPUTE_PGM_RSRC3_GFX90A:ACCUM_OFFSET: 1
; COMPUTE_PGM_RSRC3_GFX90A:TG_SPLIT: 0
	.section	.text._ZN7rocprim17ROCPRIM_304000_NS6detail20lookback_scan_kernelILNS1_25lookback_scan_determinismE0ELb0ENS1_19wrapped_scan_configINS0_14default_configEN3c107complexIdEEEEPKS8_PS8_St10multipliesIS8_ES8_S8_NS1_19lookback_scan_stateIS8_Lb1ELb0EEEEEvT2_T3_mT5_T4_T7_jPT6_SN_bb,"axG",@progbits,_ZN7rocprim17ROCPRIM_304000_NS6detail20lookback_scan_kernelILNS1_25lookback_scan_determinismE0ELb0ENS1_19wrapped_scan_configINS0_14default_configEN3c107complexIdEEEEPKS8_PS8_St10multipliesIS8_ES8_S8_NS1_19lookback_scan_stateIS8_Lb1ELb0EEEEEvT2_T3_mT5_T4_T7_jPT6_SN_bb,comdat
	.protected	_ZN7rocprim17ROCPRIM_304000_NS6detail20lookback_scan_kernelILNS1_25lookback_scan_determinismE0ELb0ENS1_19wrapped_scan_configINS0_14default_configEN3c107complexIdEEEEPKS8_PS8_St10multipliesIS8_ES8_S8_NS1_19lookback_scan_stateIS8_Lb1ELb0EEEEEvT2_T3_mT5_T4_T7_jPT6_SN_bb ; -- Begin function _ZN7rocprim17ROCPRIM_304000_NS6detail20lookback_scan_kernelILNS1_25lookback_scan_determinismE0ELb0ENS1_19wrapped_scan_configINS0_14default_configEN3c107complexIdEEEEPKS8_PS8_St10multipliesIS8_ES8_S8_NS1_19lookback_scan_stateIS8_Lb1ELb0EEEEEvT2_T3_mT5_T4_T7_jPT6_SN_bb
	.globl	_ZN7rocprim17ROCPRIM_304000_NS6detail20lookback_scan_kernelILNS1_25lookback_scan_determinismE0ELb0ENS1_19wrapped_scan_configINS0_14default_configEN3c107complexIdEEEEPKS8_PS8_St10multipliesIS8_ES8_S8_NS1_19lookback_scan_stateIS8_Lb1ELb0EEEEEvT2_T3_mT5_T4_T7_jPT6_SN_bb
	.p2align	8
	.type	_ZN7rocprim17ROCPRIM_304000_NS6detail20lookback_scan_kernelILNS1_25lookback_scan_determinismE0ELb0ENS1_19wrapped_scan_configINS0_14default_configEN3c107complexIdEEEEPKS8_PS8_St10multipliesIS8_ES8_S8_NS1_19lookback_scan_stateIS8_Lb1ELb0EEEEEvT2_T3_mT5_T4_T7_jPT6_SN_bb,@function
_ZN7rocprim17ROCPRIM_304000_NS6detail20lookback_scan_kernelILNS1_25lookback_scan_determinismE0ELb0ENS1_19wrapped_scan_configINS0_14default_configEN3c107complexIdEEEEPKS8_PS8_St10multipliesIS8_ES8_S8_NS1_19lookback_scan_stateIS8_Lb1ELb0EEEEEvT2_T3_mT5_T4_T7_jPT6_SN_bb: ; @_ZN7rocprim17ROCPRIM_304000_NS6detail20lookback_scan_kernelILNS1_25lookback_scan_determinismE0ELb0ENS1_19wrapped_scan_configINS0_14default_configEN3c107complexIdEEEEPKS8_PS8_St10multipliesIS8_ES8_S8_NS1_19lookback_scan_stateIS8_Lb1ELb0EEEEEvT2_T3_mT5_T4_T7_jPT6_SN_bb
; %bb.0:
	s_endpgm
	.section	.rodata,"a",@progbits
	.p2align	6, 0x0
	.amdhsa_kernel _ZN7rocprim17ROCPRIM_304000_NS6detail20lookback_scan_kernelILNS1_25lookback_scan_determinismE0ELb0ENS1_19wrapped_scan_configINS0_14default_configEN3c107complexIdEEEEPKS8_PS8_St10multipliesIS8_ES8_S8_NS1_19lookback_scan_stateIS8_Lb1ELb0EEEEEvT2_T3_mT5_T4_T7_jPT6_SN_bb
		.amdhsa_group_segment_fixed_size 0
		.amdhsa_private_segment_fixed_size 0
		.amdhsa_kernarg_size 108
		.amdhsa_user_sgpr_count 2
		.amdhsa_user_sgpr_dispatch_ptr 0
		.amdhsa_user_sgpr_queue_ptr 0
		.amdhsa_user_sgpr_kernarg_segment_ptr 1
		.amdhsa_user_sgpr_dispatch_id 0
		.amdhsa_user_sgpr_kernarg_preload_length 0
		.amdhsa_user_sgpr_kernarg_preload_offset 0
		.amdhsa_user_sgpr_private_segment_size 0
		.amdhsa_uses_dynamic_stack 0
		.amdhsa_enable_private_segment 0
		.amdhsa_system_sgpr_workgroup_id_x 1
		.amdhsa_system_sgpr_workgroup_id_y 0
		.amdhsa_system_sgpr_workgroup_id_z 0
		.amdhsa_system_sgpr_workgroup_info 0
		.amdhsa_system_vgpr_workitem_id 0
		.amdhsa_next_free_vgpr 1
		.amdhsa_next_free_sgpr 0
		.amdhsa_accum_offset 4
		.amdhsa_reserve_vcc 0
		.amdhsa_float_round_mode_32 0
		.amdhsa_float_round_mode_16_64 0
		.amdhsa_float_denorm_mode_32 3
		.amdhsa_float_denorm_mode_16_64 3
		.amdhsa_dx10_clamp 1
		.amdhsa_ieee_mode 1
		.amdhsa_fp16_overflow 0
		.amdhsa_tg_split 0
		.amdhsa_exception_fp_ieee_invalid_op 0
		.amdhsa_exception_fp_denorm_src 0
		.amdhsa_exception_fp_ieee_div_zero 0
		.amdhsa_exception_fp_ieee_overflow 0
		.amdhsa_exception_fp_ieee_underflow 0
		.amdhsa_exception_fp_ieee_inexact 0
		.amdhsa_exception_int_div_zero 0
	.end_amdhsa_kernel
	.section	.text._ZN7rocprim17ROCPRIM_304000_NS6detail20lookback_scan_kernelILNS1_25lookback_scan_determinismE0ELb0ENS1_19wrapped_scan_configINS0_14default_configEN3c107complexIdEEEEPKS8_PS8_St10multipliesIS8_ES8_S8_NS1_19lookback_scan_stateIS8_Lb1ELb0EEEEEvT2_T3_mT5_T4_T7_jPT6_SN_bb,"axG",@progbits,_ZN7rocprim17ROCPRIM_304000_NS6detail20lookback_scan_kernelILNS1_25lookback_scan_determinismE0ELb0ENS1_19wrapped_scan_configINS0_14default_configEN3c107complexIdEEEEPKS8_PS8_St10multipliesIS8_ES8_S8_NS1_19lookback_scan_stateIS8_Lb1ELb0EEEEEvT2_T3_mT5_T4_T7_jPT6_SN_bb,comdat
.Lfunc_end65:
	.size	_ZN7rocprim17ROCPRIM_304000_NS6detail20lookback_scan_kernelILNS1_25lookback_scan_determinismE0ELb0ENS1_19wrapped_scan_configINS0_14default_configEN3c107complexIdEEEEPKS8_PS8_St10multipliesIS8_ES8_S8_NS1_19lookback_scan_stateIS8_Lb1ELb0EEEEEvT2_T3_mT5_T4_T7_jPT6_SN_bb, .Lfunc_end65-_ZN7rocprim17ROCPRIM_304000_NS6detail20lookback_scan_kernelILNS1_25lookback_scan_determinismE0ELb0ENS1_19wrapped_scan_configINS0_14default_configEN3c107complexIdEEEEPKS8_PS8_St10multipliesIS8_ES8_S8_NS1_19lookback_scan_stateIS8_Lb1ELb0EEEEEvT2_T3_mT5_T4_T7_jPT6_SN_bb
                                        ; -- End function
	.section	.AMDGPU.csdata,"",@progbits
; Kernel info:
; codeLenInByte = 4
; NumSgprs: 6
; NumVgprs: 0
; NumAgprs: 0
; TotalNumVgprs: 0
; ScratchSize: 0
; MemoryBound: 0
; FloatMode: 240
; IeeeMode: 1
; LDSByteSize: 0 bytes/workgroup (compile time only)
; SGPRBlocks: 0
; VGPRBlocks: 0
; NumSGPRsForWavesPerEU: 6
; NumVGPRsForWavesPerEU: 1
; AccumOffset: 4
; Occupancy: 8
; WaveLimiterHint : 0
; COMPUTE_PGM_RSRC2:SCRATCH_EN: 0
; COMPUTE_PGM_RSRC2:USER_SGPR: 2
; COMPUTE_PGM_RSRC2:TRAP_HANDLER: 0
; COMPUTE_PGM_RSRC2:TGID_X_EN: 1
; COMPUTE_PGM_RSRC2:TGID_Y_EN: 0
; COMPUTE_PGM_RSRC2:TGID_Z_EN: 0
; COMPUTE_PGM_RSRC2:TIDIG_COMP_CNT: 0
; COMPUTE_PGM_RSRC3_GFX90A:ACCUM_OFFSET: 0
; COMPUTE_PGM_RSRC3_GFX90A:TG_SPLIT: 0
	.section	.text._ZN7rocprim17ROCPRIM_304000_NS6detail20lookback_scan_kernelILNS1_25lookback_scan_determinismE0ELb0ENS1_19wrapped_scan_configINS0_14default_configEN3c107complexIdEEEEPKS8_PS8_St10multipliesIS8_ES8_S8_NS1_19lookback_scan_stateIS8_Lb0ELb0EEEEEvT2_T3_mT5_T4_T7_jPT6_SN_bb,"axG",@progbits,_ZN7rocprim17ROCPRIM_304000_NS6detail20lookback_scan_kernelILNS1_25lookback_scan_determinismE0ELb0ENS1_19wrapped_scan_configINS0_14default_configEN3c107complexIdEEEEPKS8_PS8_St10multipliesIS8_ES8_S8_NS1_19lookback_scan_stateIS8_Lb0ELb0EEEEEvT2_T3_mT5_T4_T7_jPT6_SN_bb,comdat
	.protected	_ZN7rocprim17ROCPRIM_304000_NS6detail20lookback_scan_kernelILNS1_25lookback_scan_determinismE0ELb0ENS1_19wrapped_scan_configINS0_14default_configEN3c107complexIdEEEEPKS8_PS8_St10multipliesIS8_ES8_S8_NS1_19lookback_scan_stateIS8_Lb0ELb0EEEEEvT2_T3_mT5_T4_T7_jPT6_SN_bb ; -- Begin function _ZN7rocprim17ROCPRIM_304000_NS6detail20lookback_scan_kernelILNS1_25lookback_scan_determinismE0ELb0ENS1_19wrapped_scan_configINS0_14default_configEN3c107complexIdEEEEPKS8_PS8_St10multipliesIS8_ES8_S8_NS1_19lookback_scan_stateIS8_Lb0ELb0EEEEEvT2_T3_mT5_T4_T7_jPT6_SN_bb
	.globl	_ZN7rocprim17ROCPRIM_304000_NS6detail20lookback_scan_kernelILNS1_25lookback_scan_determinismE0ELb0ENS1_19wrapped_scan_configINS0_14default_configEN3c107complexIdEEEEPKS8_PS8_St10multipliesIS8_ES8_S8_NS1_19lookback_scan_stateIS8_Lb0ELb0EEEEEvT2_T3_mT5_T4_T7_jPT6_SN_bb
	.p2align	8
	.type	_ZN7rocprim17ROCPRIM_304000_NS6detail20lookback_scan_kernelILNS1_25lookback_scan_determinismE0ELb0ENS1_19wrapped_scan_configINS0_14default_configEN3c107complexIdEEEEPKS8_PS8_St10multipliesIS8_ES8_S8_NS1_19lookback_scan_stateIS8_Lb0ELb0EEEEEvT2_T3_mT5_T4_T7_jPT6_SN_bb,@function
_ZN7rocprim17ROCPRIM_304000_NS6detail20lookback_scan_kernelILNS1_25lookback_scan_determinismE0ELb0ENS1_19wrapped_scan_configINS0_14default_configEN3c107complexIdEEEEPKS8_PS8_St10multipliesIS8_ES8_S8_NS1_19lookback_scan_stateIS8_Lb0ELb0EEEEEvT2_T3_mT5_T4_T7_jPT6_SN_bb: ; @_ZN7rocprim17ROCPRIM_304000_NS6detail20lookback_scan_kernelILNS1_25lookback_scan_determinismE0ELb0ENS1_19wrapped_scan_configINS0_14default_configEN3c107complexIdEEEEPKS8_PS8_St10multipliesIS8_ES8_S8_NS1_19lookback_scan_stateIS8_Lb0ELb0EEEEEvT2_T3_mT5_T4_T7_jPT6_SN_bb
; %bb.0:
	s_load_dword s3, s[0:1], 0x50
	s_load_dwordx4 s[4:7], s[0:1], 0x0
	s_load_dwordx2 s[12:13], s[0:1], 0x10
	s_load_dwordx4 s[8:11], s[0:1], 0x38
	s_load_dwordx2 s[20:21], s[0:1], 0x48
	s_waitcnt lgkmcnt(0)
	s_add_i32 s3, s3, -1
	s_mul_i32 s16, s3, 0xe00
	s_sub_u32 s24, s12, s16
	s_subb_u32 s25, s13, 0
	s_mov_b32 s15, 0
	s_mul_i32 s14, s2, 0xe00
	s_cmp_lg_u32 s2, s3
	s_cselect_b64 s[16:17], -1, 0
	s_lshl_b64 s[18:19], s[14:15], 4
	s_add_u32 s22, s4, s18
	s_addc_u32 s23, s5, s19
	s_mov_b64 s[4:5], -1
	s_and_b64 vcc, exec, s[16:17]
	v_lshlrev_b32_e32 v118, 4, v0
	s_cbranch_vccz .LBB66_2
; %bb.1:
	v_mov_b32_e32 v119, 0
	v_lshl_add_u64 v[54:55], s[22:23], 0, v[118:119]
	v_add_co_u32_e32 v14, vcc, 0x1000, v54
	global_load_dwordx4 v[2:5], v118, s[22:23]
	s_nop 0
	v_addc_co_u32_e32 v15, vcc, 0, v55, vcc
	v_add_co_u32_e32 v16, vcc, 0x2000, v54
	s_mov_b64 s[4:5], 0
	s_nop 0
	v_addc_co_u32_e32 v17, vcc, 0, v55, vcc
	v_add_co_u32_e32 v22, vcc, 0x3000, v54
	global_load_dwordx4 v[6:9], v[14:15], off
	global_load_dwordx4 v[10:13], v[16:17], off
	v_addc_co_u32_e32 v23, vcc, 0, v55, vcc
	v_add_co_u32_e32 v24, vcc, 0x4000, v54
	s_nop 1
	v_addc_co_u32_e32 v25, vcc, 0, v55, vcc
	v_add_co_u32_e32 v30, vcc, 0x5000, v54
	global_load_dwordx4 v[14:17], v[22:23], off
	global_load_dwordx4 v[18:21], v[24:25], off
	v_addc_co_u32_e32 v31, vcc, 0, v55, vcc
	v_add_co_u32_e32 v32, vcc, 0x6000, v54
	;; [unrolled: 7-line block ×5, first 2 shown]
	s_nop 1
	v_addc_co_u32_e32 v59, vcc, 0, v55, vcc
	global_load_dwordx4 v[46:49], v[56:57], off
	global_load_dwordx4 v[50:53], v[58:59], off
	v_add_co_u32_e32 v54, vcc, 0xd000, v54
	s_nop 1
	v_addc_co_u32_e32 v55, vcc, 0, v55, vcc
	global_load_dwordx4 v[54:57], v[54:55], off
	s_waitcnt vmcnt(13)
	ds_write_b128 v118, v[2:5]
	s_waitcnt vmcnt(12)
	ds_write_b128 v118, v[6:9] offset:4096
	s_waitcnt vmcnt(11)
	ds_write_b128 v118, v[10:13] offset:8192
	;; [unrolled: 2-line block ×13, first 2 shown]
	s_waitcnt lgkmcnt(0)
	s_barrier
.LBB66_2:
	s_andn2_b64 vcc, exec, s[4:5]
	v_cmp_gt_u32_e64 s[4:5], s24, v0
	s_cbranch_vccnz .LBB66_32
; %bb.3:
	s_load_dwordx4 s[12:15], s[22:23], 0x0
	v_mov_b32_e32 v119, 0
	v_lshl_add_u64 v[58:59], s[22:23], 0, v[118:119]
	s_waitcnt lgkmcnt(0)
	v_mov_b64_e32 v[4:5], s[14:15]
	v_mov_b64_e32 v[2:3], s[12:13]
	s_and_saveexec_b64 s[22:23], s[4:5]
	s_cbranch_execz .LBB66_5
; %bb.4:
	global_load_dwordx4 v[2:5], v[58:59], off
.LBB66_5:
	s_or_b64 exec, exec, s[22:23]
	v_or_b32_e32 v1, 0x100, v0
	v_cmp_gt_u32_e32 vcc, s24, v1
	v_mov_b64_e32 v[8:9], s[14:15]
	v_mov_b64_e32 v[6:7], s[12:13]
	s_and_saveexec_b64 s[4:5], vcc
	s_cbranch_execz .LBB66_7
; %bb.6:
	v_add_co_u32_e32 v6, vcc, 0x1000, v58
	s_nop 1
	v_addc_co_u32_e32 v7, vcc, 0, v59, vcc
	global_load_dwordx4 v[6:9], v[6:7], off
.LBB66_7:
	s_or_b64 exec, exec, s[4:5]
	v_or_b32_e32 v1, 0x200, v0
	v_cmp_gt_u32_e32 vcc, s24, v1
	v_mov_b64_e32 v[12:13], s[14:15]
	v_mov_b64_e32 v[10:11], s[12:13]
	s_and_saveexec_b64 s[4:5], vcc
	s_cbranch_execz .LBB66_9
; %bb.8:
	v_add_co_u32_e32 v10, vcc, 0x2000, v58
	s_nop 1
	v_addc_co_u32_e32 v11, vcc, 0, v59, vcc
	global_load_dwordx4 v[10:13], v[10:11], off
.LBB66_9:
	;; [unrolled: 13-line block ×13, first 2 shown]
	s_or_b64 exec, exec, s[4:5]
	s_waitcnt vmcnt(0)
	ds_write_b128 v118, v[2:5]
	ds_write_b128 v118, v[6:9] offset:4096
	ds_write_b128 v118, v[10:13] offset:8192
	;; [unrolled: 1-line block ×13, first 2 shown]
	s_waitcnt lgkmcnt(0)
	s_barrier
.LBB66_32:
	v_mul_u32_u24_e32 v126, 14, v0
	v_lshlrev_b32_e32 v1, 4, v126
	ds_read_b128 v[2:5], v1
	ds_read_b128 v[14:17], v1 offset:16
	ds_read_b128 v[10:13], v1 offset:32
	;; [unrolled: 1-line block ×13, first 2 shown]
	s_cmp_lg_u32 s2, 0
	v_mbcnt_lo_u32_b32 v114, -1, 0
	s_waitcnt lgkmcnt(0)
	s_barrier
	s_cbranch_scc0 .LBB66_99
; %bb.33:
	v_mul_f64 v[60:61], v[2:3], v[16:17]
	v_mul_f64 v[58:59], v[4:5], v[16:17]
	v_fmac_f64_e32 v[60:61], v[4:5], v[14:15]
	v_fma_f64 v[58:59], v[2:3], v[14:15], -v[58:59]
	v_mul_f64 v[62:63], v[60:61], v[12:13]
	v_fma_f64 v[62:63], v[10:11], v[58:59], -v[62:63]
	v_mul_f64 v[58:59], v[58:59], v[12:13]
	v_fmac_f64_e32 v[58:59], v[10:11], v[60:61]
	v_mul_f64 v[60:61], v[58:59], v[8:9]
	v_fma_f64 v[60:61], v[6:7], v[62:63], -v[60:61]
	v_mul_f64 v[62:63], v[62:63], v[8:9]
	v_fmac_f64_e32 v[62:63], v[6:7], v[58:59]
	;; [unrolled: 4-line block ×10, first 2 shown]
	v_mul_f64 v[60:61], v[58:59], v[52:53]
	v_mul_f64 v[66:67], v[62:63], v[52:53]
	v_fma_f64 v[60:61], v[50:51], v[62:63], -v[60:61]
	v_fmac_f64_e32 v[66:67], v[50:51], v[58:59]
	v_mul_f64 v[58:59], v[66:67], v[56:57]
	v_mul_f64 v[64:65], v[60:61], v[56:57]
	v_mbcnt_hi_u32_b32 v82, -1, v114
	v_fma_f64 v[62:63], v[54:55], v[60:61], -v[58:59]
	v_fmac_f64_e32 v[64:65], v[54:55], v[66:67]
	v_and_b32_e32 v68, 15, v82
	v_mov_b32_dpp v60, v62 row_shr:1 row_mask:0xf bank_mask:0xf
	v_mov_b32_dpp v61, v63 row_shr:1 row_mask:0xf bank_mask:0xf
	;; [unrolled: 1-line block ×4, first 2 shown]
	v_cmp_ne_u32_e32 vcc, 0, v68
	v_mov_b32_e32 v59, v65
	v_mov_b32_e32 v58, v64
	s_and_saveexec_b64 s[4:5], vcc
; %bb.34:
	v_mul_f64 v[58:59], v[62:63], v[66:67]
	v_fmac_f64_e32 v[58:59], v[64:65], v[60:61]
	v_mul_f64 v[64:65], v[64:65], v[66:67]
	v_fma_f64 v[62:63], v[62:63], v[60:61], -v[64:65]
	v_mov_b64_e32 v[64:65], v[58:59]
; %bb.35:
	s_or_b64 exec, exec, s[4:5]
	v_mov_b32_dpp v60, v62 row_shr:2 row_mask:0xf bank_mask:0xf
	v_mov_b32_dpp v61, v63 row_shr:2 row_mask:0xf bank_mask:0xf
	v_mov_b32_dpp v66, v58 row_shr:2 row_mask:0xf bank_mask:0xf
	v_mov_b32_dpp v67, v59 row_shr:2 row_mask:0xf bank_mask:0xf
	v_cmp_lt_u32_e32 vcc, 1, v68
	s_and_saveexec_b64 s[4:5], vcc
; %bb.36:
	v_mul_f64 v[58:59], v[62:63], v[66:67]
	v_fmac_f64_e32 v[58:59], v[64:65], v[60:61]
	v_mul_f64 v[64:65], v[64:65], v[66:67]
	v_fma_f64 v[62:63], v[62:63], v[60:61], -v[64:65]
	v_mov_b64_e32 v[64:65], v[58:59]
; %bb.37:
	s_or_b64 exec, exec, s[4:5]
	v_mov_b32_dpp v60, v62 row_shr:4 row_mask:0xf bank_mask:0xf
	v_mov_b32_dpp v61, v63 row_shr:4 row_mask:0xf bank_mask:0xf
	v_mov_b32_dpp v66, v58 row_shr:4 row_mask:0xf bank_mask:0xf
	v_mov_b32_dpp v67, v59 row_shr:4 row_mask:0xf bank_mask:0xf
	v_cmp_lt_u32_e32 vcc, 3, v68
	;; [unrolled: 14-line block ×3, first 2 shown]
	s_and_saveexec_b64 s[4:5], vcc
; %bb.40:
	v_mul_f64 v[58:59], v[62:63], v[66:67]
	v_fmac_f64_e32 v[58:59], v[64:65], v[60:61]
	v_mul_f64 v[64:65], v[64:65], v[66:67]
	v_fma_f64 v[62:63], v[62:63], v[60:61], -v[64:65]
	v_mov_b64_e32 v[64:65], v[58:59]
; %bb.41:
	s_or_b64 exec, exec, s[4:5]
	v_and_b32_e32 v68, 16, v82
	v_mov_b32_dpp v60, v62 row_bcast:15 row_mask:0xf bank_mask:0xf
	v_mov_b32_dpp v61, v63 row_bcast:15 row_mask:0xf bank_mask:0xf
	;; [unrolled: 1-line block ×4, first 2 shown]
	v_cmp_ne_u32_e32 vcc, 0, v68
	s_and_saveexec_b64 s[4:5], vcc
; %bb.42:
	v_mul_f64 v[58:59], v[62:63], v[66:67]
	v_fmac_f64_e32 v[58:59], v[64:65], v[60:61]
	v_mul_f64 v[64:65], v[64:65], v[66:67]
	v_fma_f64 v[62:63], v[62:63], v[60:61], -v[64:65]
	v_mov_b64_e32 v[64:65], v[58:59]
; %bb.43:
	s_or_b64 exec, exec, s[4:5]
	v_mov_b32_dpp v60, v62 row_bcast:31 row_mask:0xf bank_mask:0xf
	v_mov_b32_dpp v61, v63 row_bcast:31 row_mask:0xf bank_mask:0xf
	v_mov_b32_dpp v58, v58 row_bcast:31 row_mask:0xf bank_mask:0xf
	v_mov_b32_dpp v59, v59 row_bcast:31 row_mask:0xf bank_mask:0xf
	v_cmp_lt_u32_e32 vcc, 31, v82
	s_and_saveexec_b64 s[4:5], vcc
; %bb.44:
	v_mul_f64 v[66:67], v[62:63], v[58:59]
	v_fmac_f64_e32 v[66:67], v[64:65], v[60:61]
	v_mul_f64 v[58:59], v[64:65], v[58:59]
	v_fma_f64 v[62:63], v[62:63], v[60:61], -v[58:59]
	v_mov_b64_e32 v[64:65], v[66:67]
; %bb.45:
	s_or_b64 exec, exec, s[4:5]
	v_or_b32_e32 v58, 63, v0
	v_lshrrev_b32_e32 v72, 6, v0
	v_cmp_eq_u32_e32 vcc, v58, v0
	s_and_saveexec_b64 s[4:5], vcc
	s_cbranch_execz .LBB66_47
; %bb.46:
	v_lshlrev_b32_e32 v58, 4, v72
	ds_write_b128 v58, v[62:65]
.LBB66_47:
	s_or_b64 exec, exec, s[4:5]
	v_cmp_gt_u32_e32 vcc, 4, v0
	s_waitcnt lgkmcnt(0)
	s_barrier
	s_and_saveexec_b64 s[4:5], vcc
	s_cbranch_execz .LBB66_53
; %bb.48:
	ds_read_b128 v[58:61], v118
	v_and_b32_e32 v73, 3, v82
	v_cmp_ne_u32_e32 vcc, 0, v73
	s_waitcnt lgkmcnt(0)
	v_mov_b32_dpp v68, v58 row_shr:1 row_mask:0xf bank_mask:0xf
	v_mov_b32_dpp v69, v59 row_shr:1 row_mask:0xf bank_mask:0xf
	;; [unrolled: 1-line block ×4, first 2 shown]
	v_mov_b32_e32 v67, v61
	v_mov_b32_e32 v66, v60
	s_and_saveexec_b64 s[12:13], vcc
; %bb.49:
	v_mul_f64 v[66:67], v[60:61], v[68:69]
	v_fmac_f64_e32 v[66:67], v[58:59], v[70:71]
	v_mul_f64 v[60:61], v[60:61], v[70:71]
	v_fma_f64 v[58:59], v[58:59], v[68:69], -v[60:61]
	v_mov_b64_e32 v[60:61], v[66:67]
; %bb.50:
	s_or_b64 exec, exec, s[12:13]
	v_mov_b32_dpp v68, v58 row_shr:2 row_mask:0xf bank_mask:0xf
	v_mov_b32_dpp v69, v59 row_shr:2 row_mask:0xf bank_mask:0xf
	;; [unrolled: 1-line block ×4, first 2 shown]
	v_cmp_lt_u32_e32 vcc, 1, v73
	s_and_saveexec_b64 s[12:13], vcc
; %bb.51:
	v_mul_f64 v[70:71], v[58:59], v[66:67]
	v_fmac_f64_e32 v[70:71], v[60:61], v[68:69]
	v_mul_f64 v[60:61], v[60:61], v[66:67]
	v_fma_f64 v[58:59], v[58:59], v[68:69], -v[60:61]
	v_mov_b64_e32 v[60:61], v[70:71]
; %bb.52:
	s_or_b64 exec, exec, s[12:13]
	ds_write_b128 v118, v[58:61]
.LBB66_53:
	s_or_b64 exec, exec, s[4:5]
	v_mov_b64_e32 v[60:61], 0
	v_cmp_gt_u32_e32 vcc, 64, v0
	v_cmp_lt_u32_e64 s[4:5], 63, v0
	v_mov_b64_e32 v[58:59], v[60:61]
	s_waitcnt lgkmcnt(0)
	s_barrier
	s_and_saveexec_b64 s[12:13], s[4:5]
	s_cbranch_execz .LBB66_55
; %bb.54:
	v_lshl_add_u32 v58, v72, 4, -16
	ds_read_b128 v[58:61], v58
	s_waitcnt lgkmcnt(0)
	v_mul_f64 v[68:69], v[62:63], v[60:61]
	v_mul_f64 v[66:67], v[64:65], v[60:61]
	v_fmac_f64_e32 v[68:69], v[64:65], v[58:59]
	v_fma_f64 v[62:63], v[62:63], v[58:59], -v[66:67]
	v_mov_b64_e32 v[64:65], v[68:69]
.LBB66_55:
	s_or_b64 exec, exec, s[12:13]
	v_add_u32_e32 v66, -1, v82
	v_and_b32_e32 v67, 64, v82
	v_cmp_lt_i32_e64 s[4:5], v66, v67
	s_nop 1
	v_cndmask_b32_e64 v66, v66, v82, s[4:5]
	v_lshlrev_b32_e32 v66, 2, v66
	ds_bpermute_b32 v87, v66, v62
	ds_bpermute_b32 v89, v66, v63
	;; [unrolled: 1-line block ×4, first 2 shown]
	v_cmp_eq_u32_e64 s[4:5], 0, v82
	s_and_saveexec_b64 s[12:13], vcc
	s_cbranch_execz .LBB66_98
; %bb.56:
	v_mov_b32_e32 v67, 0
	ds_read_b128 v[62:65], v67 offset:48
	s_and_saveexec_b64 s[14:15], s[4:5]
	s_cbranch_execz .LBB66_58
; %bb.57:
	s_add_i32 s22, s2, 64
	s_mov_b32 s23, 0
	s_lshl_b64 s[26:27], s[22:23], 4
	s_add_u32 s26, s8, s26
	s_addc_u32 s27, s9, s27
	v_mov_b32_e32 v66, s22
	v_mov_b32_e32 v68, 1
	s_waitcnt lgkmcnt(0)
	global_store_dword v67, v62, s[26:27] sc1
	global_store_dword v67, v63, s[26:27] offset:4 sc1
	global_store_dword v67, v64, s[26:27] offset:8 sc1
	;; [unrolled: 1-line block ×3, first 2 shown]
	s_waitcnt vmcnt(0)
	global_store_byte v66, v68, s[20:21] sc1
.LBB66_58:
	s_or_b64 exec, exec, s[14:15]
	v_xad_u32 v70, v82, -1, s2
	v_add_u32_e32 v66, 64, v70
	global_load_ubyte v90, v66, s[20:21] sc1
	s_waitcnt vmcnt(0)
	v_cmp_eq_u16_e32 vcc, 0, v90
	s_and_saveexec_b64 s[14:15], vcc
	s_cbranch_execz .LBB66_62
; %bb.59:
	v_lshl_add_u64 v[68:69], s[20:21], 0, v[66:67]
	s_mov_b64 s[22:23], 0
.LBB66_60:                              ; =>This Inner Loop Header: Depth=1
	global_load_ubyte v90, v[68:69], off sc1
	s_waitcnt vmcnt(0)
	v_cmp_ne_u16_e32 vcc, 0, v90
	s_or_b64 s[22:23], vcc, s[22:23]
	s_andn2_b64 exec, exec, s[22:23]
	s_cbranch_execnz .LBB66_60
; %bb.61:
	s_or_b64 exec, exec, s[22:23]
.LBB66_62:
	s_or_b64 exec, exec, s[14:15]
	v_mov_b32_e32 v68, s11
	v_mov_b32_e32 v69, s9
	v_cmp_eq_u16_e32 vcc, 1, v90
	v_mov_b32_e32 v71, s8
	s_waitcnt vmcnt(0)
	v_cndmask_b32_e32 v69, v68, v69, vcc
	v_mov_b32_e32 v68, s10
	v_cndmask_b32_e32 v68, v68, v71, vcc
	v_lshl_add_u64 v[66:67], v[66:67], 4, v[68:69]
	s_waitcnt lgkmcnt(0)
	global_load_dword v76, v[66:67], off sc1
	global_load_dword v77, v[66:67], off offset:4 sc1
	global_load_dword v74, v[66:67], off offset:8 sc1
	;; [unrolled: 1-line block ×3, first 2 shown]
	v_cmp_eq_u16_e32 vcc, 2, v90
	v_lshlrev_b64 v[72:73], v82, -1
	v_and_b32_e32 v71, 63, v82
	v_and_b32_e32 v66, vcc_hi, v73
	v_and_b32_e32 v67, vcc_lo, v72
	v_cmp_ne_u32_e32 vcc, 63, v71
	v_or_b32_e32 v66, 0x80000000, v66
	v_ffbl_b32_e32 v66, v66
	v_addc_co_u32_e32 v68, vcc, 0, v82, vcc
	v_lshlrev_b32_e32 v92, 2, v68
	v_ffbl_b32_e32 v67, v67
	v_add_u32_e32 v66, 32, v66
	v_add_u32_e32 v91, 1, v82
	v_min_u32_e32 v83, v67, v66
	v_cmp_le_u32_e32 vcc, v91, v83
	s_waitcnt vmcnt(3)
	ds_bpermute_b32 v78, v92, v76
	s_waitcnt vmcnt(2)
	ds_bpermute_b32 v79, v92, v77
	;; [unrolled: 2-line block ×4, first 2 shown]
	v_mov_b32_e32 v69, v75
	v_mov_b32_e32 v68, v74
	v_mov_b32_e32 v67, v77
	v_mov_b32_e32 v66, v76
	s_and_saveexec_b64 s[14:15], vcc
	s_cbranch_execz .LBB66_64
; %bb.63:
	s_waitcnt lgkmcnt(0)
	v_mul_f64 v[66:67], v[74:75], v[80:81]
	v_mul_f64 v[68:69], v[76:77], v[80:81]
	v_fma_f64 v[66:67], v[76:77], v[78:79], -v[66:67]
	v_fmac_f64_e32 v[68:69], v[74:75], v[78:79]
	v_mov_b64_e32 v[74:75], v[68:69]
	v_mov_b64_e32 v[76:77], v[66:67]
.LBB66_64:
	s_or_b64 exec, exec, s[14:15]
	v_cmp_gt_u32_e32 vcc, 62, v71
	v_add_u32_e32 v94, 2, v82
	s_waitcnt lgkmcnt(3)
	v_cndmask_b32_e64 v78, 0, 1, vcc
	v_lshlrev_b32_e32 v78, 1, v78
	v_add_lshl_u32 v93, v78, v82, 2
	ds_bpermute_b32 v78, v93, v66
	s_waitcnt lgkmcnt(3)
	ds_bpermute_b32 v79, v93, v67
	s_waitcnt lgkmcnt(3)
	ds_bpermute_b32 v80, v93, v68
	s_waitcnt lgkmcnt(3)
	ds_bpermute_b32 v81, v93, v69
	v_cmp_le_u32_e32 vcc, v94, v83
	s_and_saveexec_b64 s[14:15], vcc
	s_cbranch_execz .LBB66_66
; %bb.65:
	s_waitcnt lgkmcnt(0)
	v_mul_f64 v[66:67], v[74:75], v[80:81]
	v_mul_f64 v[68:69], v[76:77], v[80:81]
	v_fma_f64 v[66:67], v[76:77], v[78:79], -v[66:67]
	v_fmac_f64_e32 v[68:69], v[74:75], v[78:79]
	v_mov_b64_e32 v[74:75], v[68:69]
	v_mov_b64_e32 v[76:77], v[66:67]
.LBB66_66:
	s_or_b64 exec, exec, s[14:15]
	v_cmp_gt_u32_e32 vcc, 60, v71
	v_add_u32_e32 v96, 4, v82
	s_waitcnt lgkmcnt(3)
	v_cndmask_b32_e64 v78, 0, 1, vcc
	v_lshlrev_b32_e32 v78, 2, v78
	v_add_lshl_u32 v95, v78, v82, 2
	ds_bpermute_b32 v78, v95, v66
	s_waitcnt lgkmcnt(3)
	ds_bpermute_b32 v79, v95, v67
	s_waitcnt lgkmcnt(3)
	ds_bpermute_b32 v80, v95, v68
	s_waitcnt lgkmcnt(3)
	ds_bpermute_b32 v81, v95, v69
	v_cmp_le_u32_e32 vcc, v96, v83
	;; [unrolled: 26-line block ×4, first 2 shown]
	s_and_saveexec_b64 s[14:15], vcc
	s_cbranch_execz .LBB66_72
; %bb.71:
	s_waitcnt lgkmcnt(0)
	v_mul_f64 v[66:67], v[74:75], v[80:81]
	v_mul_f64 v[68:69], v[76:77], v[80:81]
	v_fma_f64 v[66:67], v[76:77], v[78:79], -v[66:67]
	v_fmac_f64_e32 v[68:69], v[74:75], v[78:79]
	v_mov_b64_e32 v[74:75], v[68:69]
	v_mov_b64_e32 v[76:77], v[66:67]
.LBB66_72:
	s_or_b64 exec, exec, s[14:15]
	v_cmp_gt_u32_e32 vcc, 32, v71
	v_add_u32_e32 v102, 32, v82
	s_nop 0
	v_cndmask_b32_e64 v71, 0, 1, vcc
	v_lshlrev_b32_e32 v71, 5, v71
	v_add_lshl_u32 v101, v71, v82, 2
	ds_bpermute_b32 v66, v101, v66
	ds_bpermute_b32 v67, v101, v67
	;; [unrolled: 1-line block ×4, first 2 shown]
	v_cmp_le_u32_e32 vcc, v102, v83
	s_and_saveexec_b64 s[14:15], vcc
	s_cbranch_execz .LBB66_74
; %bb.73:
	s_waitcnt lgkmcnt(0)
	v_mul_f64 v[78:79], v[74:75], v[68:69]
	v_mul_f64 v[68:69], v[76:77], v[68:69]
	v_fma_f64 v[78:79], v[76:77], v[66:67], -v[78:79]
	v_fmac_f64_e32 v[68:69], v[74:75], v[66:67]
	v_mov_b64_e32 v[74:75], v[68:69]
	v_mov_b64_e32 v[76:77], v[78:79]
.LBB66_74:
	s_or_b64 exec, exec, s[14:15]
	v_mov_b32_e32 v71, 0
	v_mov_b32_e32 v103, 2
	s_branch .LBB66_76
.LBB66_75:                              ;   in Loop: Header=BB66_76 Depth=1
	s_or_b64 exec, exec, s[14:15]
	s_waitcnt lgkmcnt(2)
	v_mul_f64 v[76:77], v[68:69], v[78:79]
	v_fma_f64 v[76:77], v[66:67], v[74:75], -v[76:77]
	v_mul_f64 v[74:75], v[68:69], v[74:75]
	v_subrev_u32_e32 v70, 64, v70
	v_fmac_f64_e32 v[74:75], v[66:67], v[78:79]
.LBB66_76:                              ; =>This Loop Header: Depth=1
                                        ;     Child Loop BB66_79 Depth 2
	v_cmp_ne_u16_sdwa s[14:15], v90, v103 src0_sel:BYTE_0 src1_sel:DWORD
	s_waitcnt lgkmcnt(2)
	v_mov_b64_e32 v[66:67], v[76:77]
	s_waitcnt lgkmcnt(1)
	v_cndmask_b32_e64 v68, 0, 1, s[14:15]
	;;#ASMSTART
	;;#ASMEND
	s_nop 0
	v_cmp_ne_u32_e32 vcc, 0, v68
	s_cmp_lg_u64 vcc, exec
	s_waitcnt lgkmcnt(0)
	v_mov_b64_e32 v[68:69], v[74:75]
	s_cbranch_scc1 .LBB66_93
; %bb.77:                               ;   in Loop: Header=BB66_76 Depth=1
	global_load_ubyte v90, v70, s[20:21] sc1
	s_waitcnt vmcnt(0)
	v_cmp_eq_u16_e32 vcc, 0, v90
	s_and_saveexec_b64 s[14:15], vcc
	s_cbranch_execz .LBB66_81
; %bb.78:                               ;   in Loop: Header=BB66_76 Depth=1
	v_lshl_add_u64 v[74:75], s[20:21], 0, v[70:71]
	s_mov_b64 s[22:23], 0
.LBB66_79:                              ;   Parent Loop BB66_76 Depth=1
                                        ; =>  This Inner Loop Header: Depth=2
	global_load_ubyte v90, v[74:75], off sc1
	s_waitcnt vmcnt(0)
	v_cmp_ne_u16_e32 vcc, 0, v90
	s_or_b64 s[22:23], vcc, s[22:23]
	s_andn2_b64 exec, exec, s[22:23]
	s_cbranch_execnz .LBB66_79
; %bb.80:                               ;   in Loop: Header=BB66_76 Depth=1
	s_or_b64 exec, exec, s[22:23]
.LBB66_81:                              ;   in Loop: Header=BB66_76 Depth=1
	s_or_b64 exec, exec, s[14:15]
	v_mov_b32_e32 v74, s11
	v_mov_b32_e32 v75, s9
	v_cmp_eq_u16_e32 vcc, 1, v90
	v_mov_b32_e32 v76, s8
	s_waitcnt vmcnt(0)
	v_cndmask_b32_e32 v75, v74, v75, vcc
	v_mov_b32_e32 v74, s10
	v_cndmask_b32_e32 v74, v74, v76, vcc
	v_lshl_add_u64 v[76:77], v[70:71], 4, v[74:75]
	global_load_dword v74, v[76:77], off sc1
	global_load_dword v75, v[76:77], off offset:4 sc1
	global_load_dword v78, v[76:77], off offset:8 sc1
	;; [unrolled: 1-line block ×3, first 2 shown]
	v_cmp_eq_u16_e32 vcc, 2, v90
	s_waitcnt vmcnt(3)
	ds_bpermute_b32 v82, v92, v74
	v_and_b32_e32 v76, vcc_hi, v73
	v_or_b32_e32 v76, 0x80000000, v76
	s_waitcnt vmcnt(2)
	ds_bpermute_b32 v83, v92, v75
	s_waitcnt vmcnt(1)
	ds_bpermute_b32 v84, v92, v78
	;; [unrolled: 2-line block ×3, first 2 shown]
	v_and_b32_e32 v77, vcc_lo, v72
	v_ffbl_b32_e32 v76, v76
	v_ffbl_b32_e32 v77, v77
	v_add_u32_e32 v76, 32, v76
	v_min_u32_e32 v104, v77, v76
	v_cmp_le_u32_e32 vcc, v91, v104
	v_mov_b32_e32 v81, v79
	v_mov_b32_e32 v80, v78
	;; [unrolled: 1-line block ×4, first 2 shown]
	s_and_saveexec_b64 s[14:15], vcc
	s_cbranch_execz .LBB66_83
; %bb.82:                               ;   in Loop: Header=BB66_76 Depth=1
	s_waitcnt lgkmcnt(0)
	v_mul_f64 v[76:77], v[78:79], v[84:85]
	v_mul_f64 v[80:81], v[74:75], v[84:85]
	v_fma_f64 v[76:77], v[74:75], v[82:83], -v[76:77]
	v_fmac_f64_e32 v[80:81], v[78:79], v[82:83]
	v_mov_b64_e32 v[78:79], v[80:81]
	v_mov_b64_e32 v[74:75], v[76:77]
.LBB66_83:                              ;   in Loop: Header=BB66_76 Depth=1
	s_or_b64 exec, exec, s[14:15]
	s_waitcnt lgkmcnt(3)
	ds_bpermute_b32 v82, v93, v76
	s_waitcnt lgkmcnt(3)
	ds_bpermute_b32 v83, v93, v77
	s_waitcnt lgkmcnt(3)
	ds_bpermute_b32 v84, v93, v80
	s_waitcnt lgkmcnt(3)
	ds_bpermute_b32 v85, v93, v81
	v_cmp_le_u32_e32 vcc, v94, v104
	s_and_saveexec_b64 s[14:15], vcc
	s_cbranch_execz .LBB66_85
; %bb.84:                               ;   in Loop: Header=BB66_76 Depth=1
	s_waitcnt lgkmcnt(0)
	v_mul_f64 v[76:77], v[78:79], v[84:85]
	v_mul_f64 v[80:81], v[74:75], v[84:85]
	v_fma_f64 v[76:77], v[74:75], v[82:83], -v[76:77]
	v_fmac_f64_e32 v[80:81], v[78:79], v[82:83]
	v_mov_b64_e32 v[78:79], v[80:81]
	v_mov_b64_e32 v[74:75], v[76:77]
.LBB66_85:                              ;   in Loop: Header=BB66_76 Depth=1
	s_or_b64 exec, exec, s[14:15]
	s_waitcnt lgkmcnt(3)
	ds_bpermute_b32 v82, v95, v76
	s_waitcnt lgkmcnt(3)
	ds_bpermute_b32 v83, v95, v77
	s_waitcnt lgkmcnt(3)
	ds_bpermute_b32 v84, v95, v80
	s_waitcnt lgkmcnt(3)
	ds_bpermute_b32 v85, v95, v81
	v_cmp_le_u32_e32 vcc, v96, v104
	s_and_saveexec_b64 s[14:15], vcc
	s_cbranch_execz .LBB66_87
; %bb.86:                               ;   in Loop: Header=BB66_76 Depth=1
	s_waitcnt lgkmcnt(0)
	v_mul_f64 v[76:77], v[78:79], v[84:85]
	v_mul_f64 v[80:81], v[74:75], v[84:85]
	v_fma_f64 v[76:77], v[74:75], v[82:83], -v[76:77]
	v_fmac_f64_e32 v[80:81], v[78:79], v[82:83]
	v_mov_b64_e32 v[78:79], v[80:81]
	v_mov_b64_e32 v[74:75], v[76:77]
.LBB66_87:                              ;   in Loop: Header=BB66_76 Depth=1
	s_or_b64 exec, exec, s[14:15]
	s_waitcnt lgkmcnt(3)
	ds_bpermute_b32 v82, v97, v76
	s_waitcnt lgkmcnt(3)
	ds_bpermute_b32 v83, v97, v77
	s_waitcnt lgkmcnt(3)
	ds_bpermute_b32 v84, v97, v80
	s_waitcnt lgkmcnt(3)
	ds_bpermute_b32 v85, v97, v81
	v_cmp_le_u32_e32 vcc, v98, v104
	s_and_saveexec_b64 s[14:15], vcc
	s_cbranch_execz .LBB66_89
; %bb.88:                               ;   in Loop: Header=BB66_76 Depth=1
	s_waitcnt lgkmcnt(0)
	v_mul_f64 v[76:77], v[78:79], v[84:85]
	v_mul_f64 v[80:81], v[74:75], v[84:85]
	v_fma_f64 v[76:77], v[74:75], v[82:83], -v[76:77]
	v_fmac_f64_e32 v[80:81], v[78:79], v[82:83]
	v_mov_b64_e32 v[78:79], v[80:81]
	v_mov_b64_e32 v[74:75], v[76:77]
.LBB66_89:                              ;   in Loop: Header=BB66_76 Depth=1
	s_or_b64 exec, exec, s[14:15]
	s_waitcnt lgkmcnt(3)
	ds_bpermute_b32 v82, v99, v76
	s_waitcnt lgkmcnt(3)
	ds_bpermute_b32 v83, v99, v77
	s_waitcnt lgkmcnt(3)
	ds_bpermute_b32 v84, v99, v80
	s_waitcnt lgkmcnt(3)
	ds_bpermute_b32 v85, v99, v81
	v_cmp_le_u32_e32 vcc, v100, v104
	s_and_saveexec_b64 s[14:15], vcc
	s_cbranch_execz .LBB66_91
; %bb.90:                               ;   in Loop: Header=BB66_76 Depth=1
	s_waitcnt lgkmcnt(0)
	v_mul_f64 v[76:77], v[78:79], v[84:85]
	v_mul_f64 v[80:81], v[74:75], v[84:85]
	v_fma_f64 v[76:77], v[74:75], v[82:83], -v[76:77]
	v_fmac_f64_e32 v[80:81], v[78:79], v[82:83]
	v_mov_b64_e32 v[78:79], v[80:81]
	v_mov_b64_e32 v[74:75], v[76:77]
.LBB66_91:                              ;   in Loop: Header=BB66_76 Depth=1
	s_or_b64 exec, exec, s[14:15]
	ds_bpermute_b32 v76, v101, v76
	ds_bpermute_b32 v77, v101, v77
	ds_bpermute_b32 v80, v101, v80
	ds_bpermute_b32 v81, v101, v81
	v_cmp_le_u32_e32 vcc, v102, v104
	s_and_saveexec_b64 s[14:15], vcc
	s_cbranch_execz .LBB66_75
; %bb.92:                               ;   in Loop: Header=BB66_76 Depth=1
	s_waitcnt lgkmcnt(0)
	v_mul_f64 v[82:83], v[78:79], v[80:81]
	v_fma_f64 v[82:83], v[74:75], v[76:77], -v[82:83]
	v_mul_f64 v[74:75], v[74:75], v[80:81]
	v_fmac_f64_e32 v[74:75], v[78:79], v[76:77]
	v_mov_b64_e32 v[78:79], v[74:75]
	v_mov_b64_e32 v[74:75], v[82:83]
	s_branch .LBB66_75
.LBB66_93:                              ;   in Loop: Header=BB66_76 Depth=1
                                        ; implicit-def: $vgpr90
                                        ; implicit-def: $vgpr76_vgpr77
                                        ; implicit-def: $vgpr74_vgpr75
	s_cbranch_execz .LBB66_76
; %bb.94:
	s_and_saveexec_b64 s[8:9], s[4:5]
	s_cbranch_execz .LBB66_96
; %bb.95:
	s_add_i32 s2, s2, 64
	s_mov_b32 s3, 0
	s_lshl_b64 s[14:15], s[2:3], 4
	v_mul_f64 v[70:71], v[64:65], v[68:69]
	v_mul_f64 v[64:65], v[64:65], v[66:67]
	s_add_u32 s14, s10, s14
	v_fma_f64 v[70:71], v[62:63], v[66:67], -v[70:71]
	v_fmac_f64_e32 v[64:65], v[62:63], v[68:69]
	s_addc_u32 s15, s11, s15
	v_mov_b32_e32 v62, 0
	global_store_dword v62, v70, s[14:15] sc1
	global_store_dword v62, v71, s[14:15] offset:4 sc1
	global_store_dword v62, v64, s[14:15] offset:8 sc1
	;; [unrolled: 1-line block ×3, first 2 shown]
	v_mov_b32_e32 v62, s2
	v_mov_b32_e32 v63, 2
	s_waitcnt vmcnt(0) lgkmcnt(0)
	global_store_byte v62, v63, s[20:21] sc1
.LBB66_96:
	s_or_b64 exec, exec, s[8:9]
	v_cmp_eq_u32_e32 vcc, 0, v0
	s_and_b64 exec, exec, vcc
	s_cbranch_execz .LBB66_98
; %bb.97:
	v_mov_b32_e32 v62, 0
	ds_write_b128 v62, v[66:69] offset:48
.LBB66_98:
	s_or_b64 exec, exec, s[12:13]
	s_waitcnt lgkmcnt(3)
	v_cndmask_b32_e64 v62, v87, v58, s[4:5]
	v_mov_b32_e32 v58, 0
	s_waitcnt lgkmcnt(2)
	v_cndmask_b32_e64 v63, v89, v59, s[4:5]
	s_waitcnt lgkmcnt(0)
	v_cndmask_b32_e64 v65, v88, v61, s[4:5]
	v_cndmask_b32_e64 v64, v86, v60, s[4:5]
	s_barrier
	ds_read_b128 v[58:61], v58 offset:48
	v_mul_f64 v[66:67], v[4:5], v[64:65]
	v_mul_f64 v[64:65], v[2:3], v[64:65]
	v_fma_f64 v[66:67], v[2:3], v[62:63], -v[66:67]
	v_fmac_f64_e32 v[64:65], v[4:5], v[62:63]
	v_cmp_eq_u32_e32 vcc, 0, v0
	s_nop 1
	v_cndmask_b32_e32 v63, v65, v5, vcc
	v_cndmask_b32_e32 v62, v64, v4, vcc
	;; [unrolled: 1-line block ×4, first 2 shown]
	s_waitcnt lgkmcnt(0)
	v_mul_f64 v[66:67], v[62:63], v[60:61]
	v_mul_f64 v[112:113], v[64:65], v[60:61]
	v_fma_f64 v[110:111], v[64:65], v[58:59], -v[66:67]
	v_fmac_f64_e32 v[112:113], v[62:63], v[58:59]
	v_mul_f64 v[58:59], v[16:17], v[112:113]
	v_mul_f64 v[60:61], v[16:17], v[110:111]
	v_fma_f64 v[58:59], v[14:15], v[110:111], -v[58:59]
	v_fmac_f64_e32 v[60:61], v[14:15], v[112:113]
	;; [unrolled: 4-line block ×14, first 2 shown]
	s_load_dwordx4 s[12:15], s[0:1], 0x58
	s_branch .LBB66_129
.LBB66_99:
                                        ; implicit-def: $vgpr110_vgpr111
                                        ; implicit-def: $vgpr58_vgpr59
                                        ; implicit-def: $vgpr62_vgpr63
                                        ; implicit-def: $vgpr66_vgpr67
                                        ; implicit-def: $vgpr70_vgpr71
                                        ; implicit-def: $vgpr74_vgpr75
                                        ; implicit-def: $vgpr78_vgpr79
                                        ; implicit-def: $vgpr82_vgpr83
                                        ; implicit-def: $vgpr86_vgpr87
                                        ; implicit-def: $vgpr90_vgpr91
                                        ; implicit-def: $vgpr94_vgpr95
                                        ; implicit-def: $vgpr98_vgpr99
                                        ; implicit-def: $vgpr102_vgpr103
                                        ; implicit-def: $vgpr106_vgpr107
	s_load_dwordx4 s[12:15], s[0:1], 0x58
	s_cbranch_execz .LBB66_129
; %bb.100:
	s_load_dword s4, s[0:1], 0x68
	v_cmp_eq_u32_e32 vcc, 0, v0
	v_cmp_ne_u32_e64 s[2:3], 0, v0
	s_waitcnt lgkmcnt(0)
	s_bitcmp1_b32 s4, 0
	s_cselect_b64 s[4:5], -1, 0
	s_and_b64 s[8:9], vcc, s[4:5]
	s_and_saveexec_b64 s[4:5], s[8:9]
	s_cbranch_execz .LBB66_102
; %bb.101:
	v_mov_b32_e32 v58, 0
	global_load_dwordx4 v[58:61], v58, s[12:13]
	s_waitcnt vmcnt(0)
	v_mul_f64 v[62:63], v[4:5], v[60:61]
	v_mul_f64 v[60:61], v[2:3], v[60:61]
	v_fmac_f64_e32 v[60:61], v[4:5], v[58:59]
	v_fma_f64 v[2:3], v[2:3], v[58:59], -v[62:63]
	v_mov_b64_e32 v[4:5], v[60:61]
.LBB66_102:
	s_or_b64 exec, exec, s[4:5]
	v_mul_f64 v[58:59], v[16:17], v[4:5]
	v_mul_f64 v[60:61], v[16:17], v[2:3]
	v_fma_f64 v[58:59], v[14:15], v[2:3], -v[58:59]
	v_fmac_f64_e32 v[60:61], v[14:15], v[4:5]
	v_mul_f64 v[62:63], v[12:13], v[60:61]
	v_mul_f64 v[64:65], v[12:13], v[58:59]
	v_fma_f64 v[62:63], v[10:11], v[58:59], -v[62:63]
	v_fmac_f64_e32 v[64:65], v[10:11], v[60:61]
	;; [unrolled: 4-line block ×12, first 2 shown]
	v_mul_f64 v[106:107], v[56:57], v[104:105]
	v_mul_f64 v[108:109], v[56:57], v[102:103]
	v_mbcnt_hi_u32_b32 v119, -1, v114
	v_fma_f64 v[106:107], v[54:55], v[102:103], -v[106:107]
	v_fmac_f64_e32 v[108:109], v[54:55], v[104:105]
	v_and_b32_e32 v124, 15, v119
	v_mov_b32_dpp v120, v106 row_shr:1 row_mask:0xf bank_mask:0xf
	v_mov_b32_dpp v121, v107 row_shr:1 row_mask:0xf bank_mask:0xf
	;; [unrolled: 1-line block ×4, first 2 shown]
	v_cmp_ne_u32_e64 s[4:5], 0, v124
	v_mov_b64_e32 v[110:111], v[106:107]
	v_mov_b64_e32 v[112:113], v[108:109]
	v_mov_b32_e32 v115, v109
	v_mov_b32_e32 v114, v108
	;; [unrolled: 1-line block ×4, first 2 shown]
	s_and_saveexec_b64 s[8:9], s[4:5]
; %bb.103:
	v_mul_f64 v[112:113], v[106:107], v[122:123]
	v_mul_f64 v[110:111], v[108:109], v[122:123]
	v_fmac_f64_e32 v[112:113], v[108:109], v[120:121]
	v_fma_f64 v[110:111], v[106:107], v[120:121], -v[110:111]
	v_mov_b32_e32 v115, v113
	v_mov_b32_e32 v114, v112
	;; [unrolled: 1-line block ×4, first 2 shown]
; %bb.104:
	s_or_b64 exec, exec, s[8:9]
	s_nop 0
	v_mov_b32_dpp v120, v116 row_shr:2 row_mask:0xf bank_mask:0xf
	v_mov_b32_dpp v121, v117 row_shr:2 row_mask:0xf bank_mask:0xf
	v_mov_b32_dpp v122, v114 row_shr:2 row_mask:0xf bank_mask:0xf
	v_mov_b32_dpp v123, v115 row_shr:2 row_mask:0xf bank_mask:0xf
	v_cmp_lt_u32_e64 s[4:5], 1, v124
	s_and_saveexec_b64 s[8:9], s[4:5]
; %bb.105:
	v_mul_f64 v[114:115], v[110:111], v[122:123]
	v_fmac_f64_e32 v[114:115], v[112:113], v[120:121]
	v_mul_f64 v[112:113], v[112:113], v[122:123]
	v_fma_f64 v[116:117], v[110:111], v[120:121], -v[112:113]
	v_mov_b64_e32 v[112:113], v[114:115]
	v_mov_b64_e32 v[110:111], v[116:117]
; %bb.106:
	s_or_b64 exec, exec, s[8:9]
	v_mov_b32_dpp v120, v116 row_shr:4 row_mask:0xf bank_mask:0xf
	v_mov_b32_dpp v121, v117 row_shr:4 row_mask:0xf bank_mask:0xf
	v_mov_b32_dpp v122, v114 row_shr:4 row_mask:0xf bank_mask:0xf
	v_mov_b32_dpp v123, v115 row_shr:4 row_mask:0xf bank_mask:0xf
	v_cmp_lt_u32_e64 s[4:5], 3, v124
	s_and_saveexec_b64 s[8:9], s[4:5]
; %bb.107:
	v_mul_f64 v[114:115], v[110:111], v[122:123]
	v_fmac_f64_e32 v[114:115], v[112:113], v[120:121]
	v_mul_f64 v[112:113], v[112:113], v[122:123]
	v_fma_f64 v[116:117], v[110:111], v[120:121], -v[112:113]
	v_mov_b64_e32 v[112:113], v[114:115]
	v_mov_b64_e32 v[110:111], v[116:117]
; %bb.108:
	s_or_b64 exec, exec, s[8:9]
	;; [unrolled: 15-line block ×3, first 2 shown]
	v_and_b32_e32 v124, 16, v119
	v_mov_b32_dpp v120, v116 row_bcast:15 row_mask:0xf bank_mask:0xf
	v_mov_b32_dpp v121, v117 row_bcast:15 row_mask:0xf bank_mask:0xf
	;; [unrolled: 1-line block ×4, first 2 shown]
	v_cmp_ne_u32_e64 s[4:5], 0, v124
	s_and_saveexec_b64 s[8:9], s[4:5]
; %bb.111:
	v_mul_f64 v[114:115], v[110:111], v[122:123]
	v_fmac_f64_e32 v[114:115], v[112:113], v[120:121]
	v_mul_f64 v[112:113], v[112:113], v[122:123]
	v_fma_f64 v[110:111], v[110:111], v[120:121], -v[112:113]
	v_mov_b64_e32 v[112:113], v[114:115]
	v_mov_b32_e32 v117, v111
	v_mov_b32_e32 v116, v110
; %bb.112:
	s_or_b64 exec, exec, s[8:9]
	s_nop 0
	v_mov_b32_dpp v116, v116 row_bcast:31 row_mask:0xf bank_mask:0xf
	v_mov_b32_dpp v117, v117 row_bcast:31 row_mask:0xf bank_mask:0xf
	;; [unrolled: 1-line block ×4, first 2 shown]
	v_cmp_lt_u32_e64 s[4:5], 31, v119
	s_and_saveexec_b64 s[8:9], s[4:5]
; %bb.113:
	v_mul_f64 v[120:121], v[110:111], v[114:115]
	v_fmac_f64_e32 v[120:121], v[112:113], v[116:117]
	v_mul_f64 v[112:113], v[112:113], v[114:115]
	v_fma_f64 v[110:111], v[110:111], v[116:117], -v[112:113]
	v_mov_b64_e32 v[112:113], v[120:121]
; %bb.114:
	s_or_b64 exec, exec, s[8:9]
	v_or_b32_e32 v114, 63, v0
	v_lshrrev_b32_e32 v127, 6, v0
	v_cmp_eq_u32_e64 s[4:5], v114, v0
	s_and_saveexec_b64 s[8:9], s[4:5]
	s_cbranch_execz .LBB66_116
; %bb.115:
	v_lshlrev_b32_e32 v114, 4, v127
	ds_write_b128 v114, v[110:113]
.LBB66_116:
	s_or_b64 exec, exec, s[8:9]
	v_cmp_gt_u32_e64 s[4:5], 4, v0
	s_waitcnt lgkmcnt(0)
	s_barrier
	s_and_saveexec_b64 s[8:9], s[4:5]
	s_cbranch_execz .LBB66_122
; %bb.117:
	s_movk_i32 s4, 0xff30
	v_mad_i32_i24 v114, v0, s4, v1
	ds_read_b128 v[114:117], v114
	v_and_b32_e32 v128, 3, v119
	v_cmp_ne_u32_e64 s[4:5], 0, v128
	s_waitcnt lgkmcnt(0)
	v_mov_b32_dpp v122, v114 row_shr:1 row_mask:0xf bank_mask:0xf
	v_mov_b32_dpp v123, v115 row_shr:1 row_mask:0xf bank_mask:0xf
	;; [unrolled: 1-line block ×4, first 2 shown]
	v_mov_b32_e32 v121, v117
	v_mov_b32_e32 v120, v116
	s_and_saveexec_b64 s[12:13], s[4:5]
; %bb.118:
	v_mul_f64 v[120:121], v[116:117], v[122:123]
	v_fmac_f64_e32 v[120:121], v[114:115], v[124:125]
	v_mul_f64 v[116:117], v[116:117], v[124:125]
	v_fma_f64 v[114:115], v[114:115], v[122:123], -v[116:117]
	v_mov_b64_e32 v[116:117], v[120:121]
; %bb.119:
	s_or_b64 exec, exec, s[12:13]
	v_mul_i32_i24_e32 v124, 0xffffff30, v0
	v_mov_b32_dpp v122, v114 row_shr:2 row_mask:0xf bank_mask:0xf
	v_mov_b32_dpp v123, v115 row_shr:2 row_mask:0xf bank_mask:0xf
	;; [unrolled: 1-line block ×4, first 2 shown]
	v_cmp_lt_u32_e64 s[4:5], 1, v128
	s_and_saveexec_b64 s[12:13], s[4:5]
; %bb.120:
	v_mul_f64 v[128:129], v[114:115], v[120:121]
	v_fmac_f64_e32 v[128:129], v[116:117], v[122:123]
	v_mul_f64 v[116:117], v[116:117], v[120:121]
	v_fma_f64 v[114:115], v[114:115], v[122:123], -v[116:117]
	v_mov_b64_e32 v[116:117], v[128:129]
; %bb.121:
	s_or_b64 exec, exec, s[12:13]
	v_add_u32_e32 v120, v1, v124
	ds_write_b128 v120, v[114:117]
.LBB66_122:
	s_or_b64 exec, exec, s[8:9]
	v_mov_b64_e32 v[116:117], 0
	v_cmp_lt_u32_e64 s[4:5], 63, v0
	v_mov_b64_e32 v[114:115], v[116:117]
	s_waitcnt lgkmcnt(0)
	s_barrier
	s_and_saveexec_b64 s[8:9], s[4:5]
	s_cbranch_execz .LBB66_124
; %bb.123:
	v_lshl_add_u32 v114, v127, 4, -16
	ds_read_b128 v[114:117], v114
	s_waitcnt lgkmcnt(0)
	v_mul_f64 v[122:123], v[110:111], v[116:117]
	v_mul_f64 v[120:121], v[112:113], v[116:117]
	v_fmac_f64_e32 v[122:123], v[112:113], v[114:115]
	v_fma_f64 v[110:111], v[110:111], v[114:115], -v[120:121]
	v_mov_b64_e32 v[112:113], v[122:123]
.LBB66_124:
	s_or_b64 exec, exec, s[8:9]
	v_add_u32_e32 v120, -1, v119
	v_and_b32_e32 v121, 64, v119
	v_cmp_lt_i32_e64 s[4:5], v120, v121
	s_nop 1
	v_cndmask_b32_e64 v120, v120, v119, s[4:5]
	v_lshlrev_b32_e32 v120, 2, v120
	ds_bpermute_b32 v110, v120, v110
	ds_bpermute_b32 v111, v120, v111
	;; [unrolled: 1-line block ×4, first 2 shown]
	s_and_saveexec_b64 s[4:5], s[2:3]
	s_cbranch_execz .LBB66_126
; %bb.125:
	v_cmp_eq_u32_e64 s[2:3], 0, v119
	s_waitcnt lgkmcnt(0)
	s_nop 0
	v_cndmask_b32_e64 v59, v113, v117, s[2:3]
	v_cndmask_b32_e64 v58, v112, v116, s[2:3]
	;; [unrolled: 1-line block ×4, first 2 shown]
	v_mul_f64 v[62:63], v[4:5], v[58:59]
	v_fma_f64 v[110:111], v[2:3], v[60:61], -v[62:63]
	v_mul_f64 v[2:3], v[2:3], v[58:59]
	v_fmac_f64_e32 v[2:3], v[4:5], v[60:61]
	v_mul_f64 v[4:5], v[16:17], v[2:3]
	v_mul_f64 v[60:61], v[16:17], v[110:111]
	v_fma_f64 v[58:59], v[14:15], v[110:111], -v[4:5]
	v_fmac_f64_e32 v[60:61], v[14:15], v[2:3]
	v_mul_f64 v[4:5], v[12:13], v[60:61]
	v_mul_f64 v[64:65], v[12:13], v[58:59]
	v_fma_f64 v[62:63], v[10:11], v[58:59], -v[4:5]
	;; [unrolled: 4-line block ×13, first 2 shown]
	v_fmac_f64_e32 v[108:109], v[54:55], v[104:105]
	v_mov_b64_e32 v[4:5], v[2:3]
	v_mov_b64_e32 v[2:3], v[110:111]
.LBB66_126:
	s_or_b64 exec, exec, s[4:5]
	s_and_saveexec_b64 s[2:3], vcc
	s_cbranch_execz .LBB66_128
; %bb.127:
	v_mov_b32_e32 v10, 0
	ds_read_b128 v[6:9], v10 offset:48
	s_waitcnt lgkmcnt(0)
	global_store_dword v10, v6, s[10:11] offset:1024 sc1
	global_store_dword v10, v7, s[10:11] offset:1028 sc1
	global_store_dword v10, v8, s[10:11] offset:1032 sc1
	global_store_dword v10, v9, s[10:11] offset:1036 sc1
	v_mov_b32_e32 v6, 2
	s_waitcnt vmcnt(0)
	global_store_byte v10, v6, s[20:21] offset:64 sc1
.LBB66_128:
	s_or_b64 exec, exec, s[2:3]
	s_waitcnt lgkmcnt(2)
	v_mov_b64_e32 v[110:111], v[2:3]
	s_waitcnt lgkmcnt(0)
	v_mov_b64_e32 v[112:113], v[4:5]
.LBB66_129:
	s_add_u32 s2, s6, s18
	s_addc_u32 s3, s7, s19
	s_mov_b64 s[4:5], -1
	s_and_b64 vcc, exec, s[16:17]
	s_waitcnt lgkmcnt(0)
	s_barrier
	s_cbranch_vccz .LBB66_131
; %bb.130:
	v_mov_b32_e32 v119, 0
	ds_write_b128 v1, v[110:113]
	ds_write_b128 v1, v[58:61] offset:16
	ds_write_b128 v1, v[62:65] offset:32
	ds_write_b128 v1, v[66:69] offset:48
	ds_write_b128 v1, v[70:73] offset:64
	ds_write_b128 v1, v[74:77] offset:80
	ds_write_b128 v1, v[78:81] offset:96
	ds_write_b128 v1, v[82:85] offset:112
	ds_write_b128 v1, v[86:89] offset:128
	ds_write_b128 v1, v[90:93] offset:144
	ds_write_b128 v1, v[94:97] offset:160
	ds_write_b128 v1, v[98:101] offset:176
	ds_write_b128 v1, v[102:105] offset:192
	ds_write_b128 v1, v[106:109] offset:208
	s_waitcnt lgkmcnt(0)
	s_barrier
	ds_read_b128 v[2:5], v118
	ds_read_b128 v[6:9], v118 offset:4096
	ds_read_b128 v[10:13], v118 offset:8192
	;; [unrolled: 1-line block ×13, first 2 shown]
	v_lshl_add_u64 v[114:115], s[2:3], 0, v[118:119]
	s_movk_i32 s4, 0x2000
	s_waitcnt lgkmcnt(13)
	global_store_dwordx4 v118, v[2:5], s[2:3]
	s_nop 1
	v_add_co_u32_e32 v2, vcc, s4, v114
	s_movk_i32 s4, 0x4000
	s_nop 0
	v_addc_co_u32_e32 v3, vcc, 0, v115, vcc
	s_waitcnt lgkmcnt(12)
	global_store_dwordx4 v[2:3], v[6:9], off offset:-4096
	s_waitcnt lgkmcnt(11)
	global_store_dwordx4 v[2:3], v[10:13], off
	v_add_co_u32_e32 v2, vcc, s4, v114
	s_movk_i32 s4, 0x6000
	s_nop 0
	v_addc_co_u32_e32 v3, vcc, 0, v115, vcc
	s_waitcnt lgkmcnt(10)
	global_store_dwordx4 v[2:3], v[14:17], off offset:-4096
	s_waitcnt lgkmcnt(9)
	global_store_dwordx4 v[2:3], v[18:21], off
	v_add_co_u32_e32 v2, vcc, s4, v114
	s_mov_b32 s4, 0x8000
	s_nop 0
	v_addc_co_u32_e32 v3, vcc, 0, v115, vcc
	s_waitcnt lgkmcnt(8)
	global_store_dwordx4 v[2:3], v[22:25], off offset:-4096
	s_waitcnt lgkmcnt(7)
	global_store_dwordx4 v[2:3], v[26:29], off
	v_add_co_u32_e32 v2, vcc, s4, v114
	s_mov_b32 s4, 0xa000
	s_nop 0
	v_addc_co_u32_e32 v3, vcc, 0, v115, vcc
	s_waitcnt lgkmcnt(6)
	global_store_dwordx4 v[2:3], v[30:33], off offset:-4096
	s_waitcnt lgkmcnt(5)
	global_store_dwordx4 v[2:3], v[34:37], off
	v_add_co_u32_e32 v2, vcc, s4, v114
	s_mov_b64 s[4:5], 0
	s_nop 0
	v_addc_co_u32_e32 v3, vcc, 0, v115, vcc
	s_waitcnt lgkmcnt(4)
	global_store_dwordx4 v[2:3], v[38:41], off offset:-4096
	s_waitcnt lgkmcnt(3)
	global_store_dwordx4 v[2:3], v[42:45], off
	v_add_co_u32_e32 v2, vcc, 0xb000, v114
	s_nop 1
	v_addc_co_u32_e32 v3, vcc, 0, v115, vcc
	s_waitcnt lgkmcnt(2)
	global_store_dwordx4 v[2:3], v[46:49], off
	v_add_co_u32_e32 v2, vcc, 0xc000, v114
	s_nop 1
	v_addc_co_u32_e32 v3, vcc, 0, v115, vcc
	;; [unrolled: 5-line block ×3, first 2 shown]
	s_waitcnt lgkmcnt(0)
	global_store_dwordx4 v[2:3], v[54:57], off
.LBB66_131:
	s_andn2_b64 vcc, exec, s[4:5]
	s_cbranch_vccnz .LBB66_211
; %bb.132:
	ds_write_b128 v1, v[110:113]
	ds_write_b128 v1, v[58:61] offset:16
	ds_write_b128 v1, v[62:65] offset:32
	;; [unrolled: 1-line block ×13, first 2 shown]
	s_waitcnt lgkmcnt(0)
	s_barrier
	ds_read_b128 v[6:9], v118
	ds_read_b128 v[2:5], v118 offset:4096
	ds_read_b128 v[10:13], v118 offset:8192
	;; [unrolled: 1-line block ×13, first 2 shown]
	v_mov_b32_e32 v119, 0
	v_lshl_add_u64 v[58:59], s[2:3], 0, v[118:119]
	v_cmp_gt_u32_e32 vcc, s24, v0
	s_and_saveexec_b64 s[2:3], vcc
	s_cbranch_execz .LBB66_134
; %bb.133:
	s_waitcnt lgkmcnt(13)
	global_store_dwordx4 v[58:59], v[6:9], off
.LBB66_134:
	s_or_b64 exec, exec, s[2:3]
	v_or_b32_e32 v1, 0x100, v0
	v_cmp_gt_u32_e32 vcc, s24, v1
	s_and_saveexec_b64 s[2:3], vcc
	s_cbranch_execz .LBB66_136
; %bb.135:
	v_add_co_u32_e32 v60, vcc, 0x1000, v58
	s_nop 1
	v_addc_co_u32_e32 v61, vcc, 0, v59, vcc
	s_waitcnt lgkmcnt(12)
	global_store_dwordx4 v[60:61], v[2:5], off
.LBB66_136:
	s_or_b64 exec, exec, s[2:3]
	v_or_b32_e32 v1, 0x200, v0
	v_cmp_gt_u32_e32 vcc, s24, v1
	s_and_saveexec_b64 s[2:3], vcc
	s_cbranch_execz .LBB66_138
; %bb.137:
	v_add_co_u32_e32 v60, vcc, 0x2000, v58
	s_nop 1
	v_addc_co_u32_e32 v61, vcc, 0, v59, vcc
	s_waitcnt lgkmcnt(11)
	global_store_dwordx4 v[60:61], v[10:13], off
.LBB66_138:
	;; [unrolled: 12-line block ×13, first 2 shown]
	s_or_b64 exec, exec, s[2:3]
	s_load_dword s0, s[0:1], 0x68
	s_waitcnt lgkmcnt(0)
	s_bfe_u32 s0, s0, 0x10008
	s_cmp_eq_u32 s0, 0
	s_cbranch_scc1 .LBB66_211
; %bb.161:
	s_add_u32 s0, s24, -1
	s_addc_u32 s1, s25, -1
	s_add_u32 s2, 0, 0x49240800
	s_addc_u32 s3, 0, 50
	s_add_i32 s3, s3, 0x12492460
	s_mul_hi_u32 s7, s2, -14
	s_sub_i32 s7, s7, s2
	s_mul_i32 s8, s3, -14
	s_mul_i32 s4, s2, -14
	s_add_i32 s7, s7, s8
	s_mul_hi_u32 s5, s3, s4
	s_mul_i32 s6, s3, s4
	s_mul_i32 s9, s2, s7
	s_mul_hi_u32 s4, s2, s4
	s_mul_hi_u32 s8, s2, s7
	s_add_u32 s4, s4, s9
	s_addc_u32 s8, 0, s8
	s_add_u32 s4, s4, s6
	s_mul_hi_u32 s9, s3, s7
	s_addc_u32 s4, s8, s5
	s_addc_u32 s5, s9, 0
	s_mul_i32 s6, s3, s7
	s_add_u32 s4, s4, s6
	v_mov_b32_e32 v58, s4
	s_addc_u32 s5, 0, s5
	v_add_co_u32_e32 v58, vcc, s2, v58
	s_cmp_lg_u64 vcc, 0
	s_addc_u32 s2, s3, s5
	v_readfirstlane_b32 s5, v58
	s_mul_i32 s4, s0, s2
	s_mul_hi_u32 s6, s0, s5
	s_mul_hi_u32 s3, s0, s2
	s_add_u32 s4, s6, s4
	s_addc_u32 s3, 0, s3
	s_mul_hi_u32 s7, s1, s5
	s_mul_i32 s5, s1, s5
	s_add_u32 s4, s4, s5
	s_mul_hi_u32 s6, s1, s2
	s_addc_u32 s3, s3, s7
	s_addc_u32 s4, s6, 0
	s_mul_i32 s2, s1, s2
	s_add_u32 s2, s3, s2
	s_addc_u32 s3, 0, s4
	s_add_u32 s4, s2, 1
	s_addc_u32 s5, s3, 0
	s_add_u32 s6, s2, 2
	s_mul_i32 s8, s3, 14
	s_mul_hi_u32 s9, s2, 14
	s_addc_u32 s7, s3, 0
	s_add_i32 s9, s9, s8
	s_mul_i32 s8, s2, 14
	v_mov_b32_e32 v58, s8
	v_sub_co_u32_e32 v58, vcc, s0, v58
	s_cmp_lg_u64 vcc, 0
	s_subb_u32 s8, s1, s9
	v_subrev_co_u32_e32 v59, vcc, 14, v58
	s_cmp_lg_u64 vcc, 0
	s_subb_u32 s9, s8, 0
	v_readfirstlane_b32 s10, v59
	s_cmp_gt_u32 s10, 13
	s_cselect_b32 s10, -1, 0
	s_cmp_eq_u32 s9, 0
	s_cselect_b32 s9, s10, -1
	s_cmp_lg_u32 s9, 0
	s_cselect_b32 s4, s6, s4
	v_readfirstlane_b32 s6, v58
	s_cselect_b32 s5, s7, s5
	s_cmp_gt_u32 s6, 13
	s_cselect_b32 s6, -1, 0
	s_cmp_eq_u32 s8, 0
	s_cselect_b32 s6, s6, -1
	s_cmp_lg_u32 s6, 0
	v_mov_b32_e32 v1, v119
	s_cselect_b32 s3, s5, s3
	s_cselect_b32 s2, s4, s2
	v_cmp_eq_u64_e32 vcc, s[2:3], v[0:1]
	s_and_saveexec_b64 s[2:3], vcc
	s_cbranch_execz .LBB66_211
; %bb.162:
	v_mul_hi_u32_u24_e32 v1, 14, v0
	v_mov_b32_e32 v58, s1
	v_sub_co_u32_e32 v0, vcc, s0, v126
	s_nop 1
	v_subb_co_u32_e32 v1, vcc, v58, v1, vcc
	v_cmp_lt_i64_e32 vcc, 6, v[0:1]
	s_and_saveexec_b64 s[0:1], vcc
	s_xor_b64 s[0:1], exec, s[0:1]
	s_cbranch_execz .LBB66_188
; %bb.163:
	v_cmp_lt_i64_e32 vcc, 9, v[0:1]
	s_and_saveexec_b64 s[2:3], vcc
	s_xor_b64 s[2:3], exec, s[2:3]
	s_cbranch_execz .LBB66_177
; %bb.164:
	v_cmp_lt_i64_e32 vcc, 11, v[0:1]
	s_and_saveexec_b64 s[4:5], vcc
	s_xor_b64 s[4:5], exec, s[4:5]
	s_cbranch_execz .LBB66_170
; %bb.165:
	v_cmp_lt_i64_e32 vcc, 12, v[0:1]
	s_and_saveexec_b64 s[6:7], vcc
	s_xor_b64 s[6:7], exec, s[6:7]
	s_cbranch_execz .LBB66_167
; %bb.166:
	v_mov_b32_e32 v0, 0
	global_store_dwordx4 v0, v[54:57], s[14:15]
                                        ; implicit-def: $vgpr50_vgpr51_vgpr52_vgpr53
.LBB66_167:
	s_andn2_saveexec_b64 s[6:7], s[6:7]
	s_cbranch_execz .LBB66_169
; %bb.168:
	v_mov_b32_e32 v0, 0
	global_store_dwordx4 v0, v[50:53], s[14:15]
.LBB66_169:
	s_or_b64 exec, exec, s[6:7]
                                        ; implicit-def: $vgpr26_vgpr27_vgpr28_vgpr29
                                        ; implicit-def: $vgpr0_vgpr1
                                        ; implicit-def: $vgpr46_vgpr47_vgpr48_vgpr49
.LBB66_170:
	s_andn2_saveexec_b64 s[4:5], s[4:5]
	s_cbranch_execz .LBB66_176
; %bb.171:
	v_cmp_lt_i64_e32 vcc, 10, v[0:1]
	s_and_saveexec_b64 s[6:7], vcc
	s_xor_b64 s[6:7], exec, s[6:7]
	s_cbranch_execz .LBB66_173
; %bb.172:
	v_mov_b32_e32 v0, 0
	global_store_dwordx4 v0, v[46:49], s[14:15]
                                        ; implicit-def: $vgpr26_vgpr27_vgpr28_vgpr29
.LBB66_173:
	s_andn2_saveexec_b64 s[6:7], s[6:7]
	s_cbranch_execz .LBB66_175
; %bb.174:
	v_mov_b32_e32 v0, 0
	global_store_dwordx4 v0, v[26:29], s[14:15]
.LBB66_175:
	s_or_b64 exec, exec, s[6:7]
.LBB66_176:
	s_or_b64 exec, exec, s[4:5]
                                        ; implicit-def: $vgpr38_vgpr39_vgpr40_vgpr41
                                        ; implicit-def: $vgpr0_vgpr1
                                        ; implicit-def: $vgpr30_vgpr31_vgpr32_vgpr33
                                        ; implicit-def: $vgpr42_vgpr43_vgpr44_vgpr45
.LBB66_177:
	s_andn2_saveexec_b64 s[2:3], s[2:3]
	s_cbranch_execz .LBB66_187
; %bb.178:
	v_cmp_lt_i64_e32 vcc, 7, v[0:1]
	s_and_saveexec_b64 s[4:5], vcc
	s_xor_b64 s[4:5], exec, s[4:5]
	s_cbranch_execz .LBB66_184
; %bb.179:
	v_cmp_lt_i64_e32 vcc, 8, v[0:1]
	s_and_saveexec_b64 s[6:7], vcc
	s_xor_b64 s[6:7], exec, s[6:7]
	s_cbranch_execz .LBB66_181
; %bb.180:
	v_mov_b32_e32 v0, 0
	global_store_dwordx4 v0, v[42:45], s[14:15]
                                        ; implicit-def: $vgpr30_vgpr31_vgpr32_vgpr33
.LBB66_181:
	s_andn2_saveexec_b64 s[6:7], s[6:7]
	s_cbranch_execz .LBB66_183
; %bb.182:
	v_mov_b32_e32 v0, 0
	global_store_dwordx4 v0, v[30:33], s[14:15]
.LBB66_183:
	s_or_b64 exec, exec, s[6:7]
                                        ; implicit-def: $vgpr38_vgpr39_vgpr40_vgpr41
.LBB66_184:
	s_andn2_saveexec_b64 s[4:5], s[4:5]
	s_cbranch_execz .LBB66_186
; %bb.185:
	v_mov_b32_e32 v0, 0
	global_store_dwordx4 v0, v[38:41], s[14:15]
.LBB66_186:
	s_or_b64 exec, exec, s[4:5]
.LBB66_187:
	s_or_b64 exec, exec, s[2:3]
                                        ; implicit-def: $vgpr0_vgpr1
                                        ; implicit-def: $vgpr22_vgpr23_vgpr24_vgpr25
                                        ; implicit-def: $vgpr2_vgpr3_vgpr4_vgpr5
                                        ; implicit-def: $vgpr10_vgpr11_vgpr12_vgpr13
                                        ; implicit-def: $vgpr6_vgpr7_vgpr8_vgpr9
                                        ; implicit-def: $vgpr18_vgpr19_vgpr20_vgpr21
                                        ; implicit-def: $vgpr14_vgpr15_vgpr16_vgpr17
                                        ; implicit-def: $vgpr34_vgpr35_vgpr36_vgpr37
.LBB66_188:
	s_andn2_saveexec_b64 s[0:1], s[0:1]
	s_cbranch_execz .LBB66_211
; %bb.189:
	v_cmp_lt_i64_e32 vcc, 3, v[0:1]
	s_and_saveexec_b64 s[0:1], vcc
	s_xor_b64 s[0:1], exec, s[0:1]
	s_cbranch_execz .LBB66_199
; %bb.190:
	v_cmp_lt_i64_e32 vcc, 4, v[0:1]
	s_and_saveexec_b64 s[2:3], vcc
	s_xor_b64 s[2:3], exec, s[2:3]
	;; [unrolled: 5-line block ×3, first 2 shown]
	s_cbranch_execz .LBB66_193
; %bb.192:
	v_mov_b32_e32 v0, 0
	global_store_dwordx4 v0, v[34:37], s[14:15]
                                        ; implicit-def: $vgpr18_vgpr19_vgpr20_vgpr21
.LBB66_193:
	s_andn2_saveexec_b64 s[4:5], s[4:5]
	s_cbranch_execz .LBB66_195
; %bb.194:
	v_mov_b32_e32 v0, 0
	global_store_dwordx4 v0, v[18:21], s[14:15]
.LBB66_195:
	s_or_b64 exec, exec, s[4:5]
                                        ; implicit-def: $vgpr22_vgpr23_vgpr24_vgpr25
.LBB66_196:
	s_andn2_saveexec_b64 s[2:3], s[2:3]
	s_cbranch_execz .LBB66_198
; %bb.197:
	v_mov_b32_e32 v0, 0
	global_store_dwordx4 v0, v[22:25], s[14:15]
.LBB66_198:
	s_or_b64 exec, exec, s[2:3]
                                        ; implicit-def: $vgpr0_vgpr1
                                        ; implicit-def: $vgpr2_vgpr3_vgpr4_vgpr5
                                        ; implicit-def: $vgpr10_vgpr11_vgpr12_vgpr13
                                        ; implicit-def: $vgpr6_vgpr7_vgpr8_vgpr9
                                        ; implicit-def: $vgpr14_vgpr15_vgpr16_vgpr17
.LBB66_199:
	s_andn2_saveexec_b64 s[0:1], s[0:1]
	s_cbranch_execz .LBB66_211
; %bb.200:
	v_cmp_lt_i64_e32 vcc, 1, v[0:1]
	s_and_saveexec_b64 s[0:1], vcc
	s_xor_b64 s[0:1], exec, s[0:1]
	s_cbranch_execz .LBB66_206
; %bb.201:
	v_cmp_lt_i64_e32 vcc, 2, v[0:1]
	s_and_saveexec_b64 s[2:3], vcc
	s_xor_b64 s[2:3], exec, s[2:3]
	s_cbranch_execz .LBB66_203
; %bb.202:
	v_mov_b32_e32 v0, 0
	global_store_dwordx4 v0, v[14:17], s[14:15]
                                        ; implicit-def: $vgpr10_vgpr11_vgpr12_vgpr13
.LBB66_203:
	s_andn2_saveexec_b64 s[2:3], s[2:3]
	s_cbranch_execz .LBB66_205
; %bb.204:
	v_mov_b32_e32 v0, 0
	global_store_dwordx4 v0, v[10:13], s[14:15]
.LBB66_205:
	s_or_b64 exec, exec, s[2:3]
                                        ; implicit-def: $vgpr2_vgpr3_vgpr4_vgpr5
                                        ; implicit-def: $vgpr0_vgpr1
                                        ; implicit-def: $vgpr6_vgpr7_vgpr8_vgpr9
.LBB66_206:
	s_andn2_saveexec_b64 s[0:1], s[0:1]
	s_cbranch_execz .LBB66_211
; %bb.207:
	v_cmp_ne_u64_e32 vcc, 1, v[0:1]
	s_and_saveexec_b64 s[0:1], vcc
	s_xor_b64 s[0:1], exec, s[0:1]
	s_cbranch_execz .LBB66_209
; %bb.208:
	v_mov_b32_e32 v0, 0
	global_store_dwordx4 v0, v[6:9], s[14:15]
                                        ; implicit-def: $vgpr2_vgpr3_vgpr4_vgpr5
.LBB66_209:
	s_andn2_saveexec_b64 s[0:1], s[0:1]
	s_cbranch_execz .LBB66_211
; %bb.210:
	v_mov_b32_e32 v0, 0
	global_store_dwordx4 v0, v[2:5], s[14:15]
.LBB66_211:
	s_endpgm
	.section	.rodata,"a",@progbits
	.p2align	6, 0x0
	.amdhsa_kernel _ZN7rocprim17ROCPRIM_304000_NS6detail20lookback_scan_kernelILNS1_25lookback_scan_determinismE0ELb0ENS1_19wrapped_scan_configINS0_14default_configEN3c107complexIdEEEEPKS8_PS8_St10multipliesIS8_ES8_S8_NS1_19lookback_scan_stateIS8_Lb0ELb0EEEEEvT2_T3_mT5_T4_T7_jPT6_SN_bb
		.amdhsa_group_segment_fixed_size 57344
		.amdhsa_private_segment_fixed_size 0
		.amdhsa_kernarg_size 108
		.amdhsa_user_sgpr_count 2
		.amdhsa_user_sgpr_dispatch_ptr 0
		.amdhsa_user_sgpr_queue_ptr 0
		.amdhsa_user_sgpr_kernarg_segment_ptr 1
		.amdhsa_user_sgpr_dispatch_id 0
		.amdhsa_user_sgpr_kernarg_preload_length 0
		.amdhsa_user_sgpr_kernarg_preload_offset 0
		.amdhsa_user_sgpr_private_segment_size 0
		.amdhsa_uses_dynamic_stack 0
		.amdhsa_enable_private_segment 0
		.amdhsa_system_sgpr_workgroup_id_x 1
		.amdhsa_system_sgpr_workgroup_id_y 0
		.amdhsa_system_sgpr_workgroup_id_z 0
		.amdhsa_system_sgpr_workgroup_info 0
		.amdhsa_system_vgpr_workitem_id 0
		.amdhsa_next_free_vgpr 130
		.amdhsa_next_free_sgpr 28
		.amdhsa_accum_offset 132
		.amdhsa_reserve_vcc 1
		.amdhsa_float_round_mode_32 0
		.amdhsa_float_round_mode_16_64 0
		.amdhsa_float_denorm_mode_32 3
		.amdhsa_float_denorm_mode_16_64 3
		.amdhsa_dx10_clamp 1
		.amdhsa_ieee_mode 1
		.amdhsa_fp16_overflow 0
		.amdhsa_tg_split 0
		.amdhsa_exception_fp_ieee_invalid_op 0
		.amdhsa_exception_fp_denorm_src 0
		.amdhsa_exception_fp_ieee_div_zero 0
		.amdhsa_exception_fp_ieee_overflow 0
		.amdhsa_exception_fp_ieee_underflow 0
		.amdhsa_exception_fp_ieee_inexact 0
		.amdhsa_exception_int_div_zero 0
	.end_amdhsa_kernel
	.section	.text._ZN7rocprim17ROCPRIM_304000_NS6detail20lookback_scan_kernelILNS1_25lookback_scan_determinismE0ELb0ENS1_19wrapped_scan_configINS0_14default_configEN3c107complexIdEEEEPKS8_PS8_St10multipliesIS8_ES8_S8_NS1_19lookback_scan_stateIS8_Lb0ELb0EEEEEvT2_T3_mT5_T4_T7_jPT6_SN_bb,"axG",@progbits,_ZN7rocprim17ROCPRIM_304000_NS6detail20lookback_scan_kernelILNS1_25lookback_scan_determinismE0ELb0ENS1_19wrapped_scan_configINS0_14default_configEN3c107complexIdEEEEPKS8_PS8_St10multipliesIS8_ES8_S8_NS1_19lookback_scan_stateIS8_Lb0ELb0EEEEEvT2_T3_mT5_T4_T7_jPT6_SN_bb,comdat
.Lfunc_end66:
	.size	_ZN7rocprim17ROCPRIM_304000_NS6detail20lookback_scan_kernelILNS1_25lookback_scan_determinismE0ELb0ENS1_19wrapped_scan_configINS0_14default_configEN3c107complexIdEEEEPKS8_PS8_St10multipliesIS8_ES8_S8_NS1_19lookback_scan_stateIS8_Lb0ELb0EEEEEvT2_T3_mT5_T4_T7_jPT6_SN_bb, .Lfunc_end66-_ZN7rocprim17ROCPRIM_304000_NS6detail20lookback_scan_kernelILNS1_25lookback_scan_determinismE0ELb0ENS1_19wrapped_scan_configINS0_14default_configEN3c107complexIdEEEEPKS8_PS8_St10multipliesIS8_ES8_S8_NS1_19lookback_scan_stateIS8_Lb0ELb0EEEEEvT2_T3_mT5_T4_T7_jPT6_SN_bb
                                        ; -- End function
	.section	.AMDGPU.csdata,"",@progbits
; Kernel info:
; codeLenInByte = 10044
; NumSgprs: 34
; NumVgprs: 130
; NumAgprs: 0
; TotalNumVgprs: 130
; ScratchSize: 0
; MemoryBound: 1
; FloatMode: 240
; IeeeMode: 1
; LDSByteSize: 57344 bytes/workgroup (compile time only)
; SGPRBlocks: 4
; VGPRBlocks: 16
; NumSGPRsForWavesPerEU: 34
; NumVGPRsForWavesPerEU: 130
; AccumOffset: 132
; Occupancy: 1
; WaveLimiterHint : 1
; COMPUTE_PGM_RSRC2:SCRATCH_EN: 0
; COMPUTE_PGM_RSRC2:USER_SGPR: 2
; COMPUTE_PGM_RSRC2:TRAP_HANDLER: 0
; COMPUTE_PGM_RSRC2:TGID_X_EN: 1
; COMPUTE_PGM_RSRC2:TGID_Y_EN: 0
; COMPUTE_PGM_RSRC2:TGID_Z_EN: 0
; COMPUTE_PGM_RSRC2:TIDIG_COMP_CNT: 0
; COMPUTE_PGM_RSRC3_GFX90A:ACCUM_OFFSET: 32
; COMPUTE_PGM_RSRC3_GFX90A:TG_SPLIT: 0
	.section	.text._ZN7rocprim17ROCPRIM_304000_NS6detail16transform_kernelINS1_24wrapped_transform_configINS0_14default_configEN3c107complexIdEEEES7_PS7_S9_NS0_8identityIS7_EEEEvT1_mT2_T3_,"axG",@progbits,_ZN7rocprim17ROCPRIM_304000_NS6detail16transform_kernelINS1_24wrapped_transform_configINS0_14default_configEN3c107complexIdEEEES7_PS7_S9_NS0_8identityIS7_EEEEvT1_mT2_T3_,comdat
	.protected	_ZN7rocprim17ROCPRIM_304000_NS6detail16transform_kernelINS1_24wrapped_transform_configINS0_14default_configEN3c107complexIdEEEES7_PS7_S9_NS0_8identityIS7_EEEEvT1_mT2_T3_ ; -- Begin function _ZN7rocprim17ROCPRIM_304000_NS6detail16transform_kernelINS1_24wrapped_transform_configINS0_14default_configEN3c107complexIdEEEES7_PS7_S9_NS0_8identityIS7_EEEEvT1_mT2_T3_
	.globl	_ZN7rocprim17ROCPRIM_304000_NS6detail16transform_kernelINS1_24wrapped_transform_configINS0_14default_configEN3c107complexIdEEEES7_PS7_S9_NS0_8identityIS7_EEEEvT1_mT2_T3_
	.p2align	8
	.type	_ZN7rocprim17ROCPRIM_304000_NS6detail16transform_kernelINS1_24wrapped_transform_configINS0_14default_configEN3c107complexIdEEEES7_PS7_S9_NS0_8identityIS7_EEEEvT1_mT2_T3_,@function
_ZN7rocprim17ROCPRIM_304000_NS6detail16transform_kernelINS1_24wrapped_transform_configINS0_14default_configEN3c107complexIdEEEES7_PS7_S9_NS0_8identityIS7_EEEEvT1_mT2_T3_: ; @_ZN7rocprim17ROCPRIM_304000_NS6detail16transform_kernelINS1_24wrapped_transform_configINS0_14default_configEN3c107complexIdEEEES7_PS7_S9_NS0_8identityIS7_EEEEvT1_mT2_T3_
; %bb.0:
	s_load_dword s3, s[0:1], 0x20
	s_load_dwordx4 s[4:7], s[0:1], 0x0
	s_lshl_b32 s8, s2, 8
	s_waitcnt lgkmcnt(0)
	s_add_i32 s3, s3, -1
	s_cmp_lg_u32 s2, s3
	s_cselect_b64 s[2:3], -1, 0
	s_sub_i32 s6, s6, s8
	v_cmp_gt_u32_e32 vcc, s6, v0
	s_or_b64 s[2:3], vcc, s[2:3]
	s_and_saveexec_b64 s[6:7], s[2:3]
	s_cbranch_execz .LBB67_2
; %bb.1:
	s_load_dwordx2 s[0:1], s[0:1], 0x10
	s_mov_b32 s9, 0
	s_lshl_b64 s[2:3], s[8:9], 4
	v_lshlrev_b32_e32 v4, 4, v0
	s_waitcnt lgkmcnt(0)
	s_add_u32 s0, s0, s2
	s_addc_u32 s1, s1, s3
	s_add_u32 s2, s4, s2
	s_addc_u32 s3, s5, s3
	global_load_dwordx4 v[0:3], v4, s[2:3]
	s_waitcnt vmcnt(0)
	global_store_dwordx4 v4, v[0:3], s[0:1]
.LBB67_2:
	s_endpgm
	.section	.rodata,"a",@progbits
	.p2align	6, 0x0
	.amdhsa_kernel _ZN7rocprim17ROCPRIM_304000_NS6detail16transform_kernelINS1_24wrapped_transform_configINS0_14default_configEN3c107complexIdEEEES7_PS7_S9_NS0_8identityIS7_EEEEvT1_mT2_T3_
		.amdhsa_group_segment_fixed_size 0
		.amdhsa_private_segment_fixed_size 0
		.amdhsa_kernarg_size 288
		.amdhsa_user_sgpr_count 2
		.amdhsa_user_sgpr_dispatch_ptr 0
		.amdhsa_user_sgpr_queue_ptr 0
		.amdhsa_user_sgpr_kernarg_segment_ptr 1
		.amdhsa_user_sgpr_dispatch_id 0
		.amdhsa_user_sgpr_kernarg_preload_length 0
		.amdhsa_user_sgpr_kernarg_preload_offset 0
		.amdhsa_user_sgpr_private_segment_size 0
		.amdhsa_uses_dynamic_stack 0
		.amdhsa_enable_private_segment 0
		.amdhsa_system_sgpr_workgroup_id_x 1
		.amdhsa_system_sgpr_workgroup_id_y 0
		.amdhsa_system_sgpr_workgroup_id_z 0
		.amdhsa_system_sgpr_workgroup_info 0
		.amdhsa_system_vgpr_workitem_id 0
		.amdhsa_next_free_vgpr 5
		.amdhsa_next_free_sgpr 10
		.amdhsa_accum_offset 8
		.amdhsa_reserve_vcc 1
		.amdhsa_float_round_mode_32 0
		.amdhsa_float_round_mode_16_64 0
		.amdhsa_float_denorm_mode_32 3
		.amdhsa_float_denorm_mode_16_64 3
		.amdhsa_dx10_clamp 1
		.amdhsa_ieee_mode 1
		.amdhsa_fp16_overflow 0
		.amdhsa_tg_split 0
		.amdhsa_exception_fp_ieee_invalid_op 0
		.amdhsa_exception_fp_denorm_src 0
		.amdhsa_exception_fp_ieee_div_zero 0
		.amdhsa_exception_fp_ieee_overflow 0
		.amdhsa_exception_fp_ieee_underflow 0
		.amdhsa_exception_fp_ieee_inexact 0
		.amdhsa_exception_int_div_zero 0
	.end_amdhsa_kernel
	.section	.text._ZN7rocprim17ROCPRIM_304000_NS6detail16transform_kernelINS1_24wrapped_transform_configINS0_14default_configEN3c107complexIdEEEES7_PS7_S9_NS0_8identityIS7_EEEEvT1_mT2_T3_,"axG",@progbits,_ZN7rocprim17ROCPRIM_304000_NS6detail16transform_kernelINS1_24wrapped_transform_configINS0_14default_configEN3c107complexIdEEEES7_PS7_S9_NS0_8identityIS7_EEEEvT1_mT2_T3_,comdat
.Lfunc_end67:
	.size	_ZN7rocprim17ROCPRIM_304000_NS6detail16transform_kernelINS1_24wrapped_transform_configINS0_14default_configEN3c107complexIdEEEES7_PS7_S9_NS0_8identityIS7_EEEEvT1_mT2_T3_, .Lfunc_end67-_ZN7rocprim17ROCPRIM_304000_NS6detail16transform_kernelINS1_24wrapped_transform_configINS0_14default_configEN3c107complexIdEEEES7_PS7_S9_NS0_8identityIS7_EEEEvT1_mT2_T3_
                                        ; -- End function
	.section	.AMDGPU.csdata,"",@progbits
; Kernel info:
; codeLenInByte = 120
; NumSgprs: 16
; NumVgprs: 5
; NumAgprs: 0
; TotalNumVgprs: 5
; ScratchSize: 0
; MemoryBound: 0
; FloatMode: 240
; IeeeMode: 1
; LDSByteSize: 0 bytes/workgroup (compile time only)
; SGPRBlocks: 1
; VGPRBlocks: 0
; NumSGPRsForWavesPerEU: 16
; NumVGPRsForWavesPerEU: 5
; AccumOffset: 8
; Occupancy: 8
; WaveLimiterHint : 0
; COMPUTE_PGM_RSRC2:SCRATCH_EN: 0
; COMPUTE_PGM_RSRC2:USER_SGPR: 2
; COMPUTE_PGM_RSRC2:TRAP_HANDLER: 0
; COMPUTE_PGM_RSRC2:TGID_X_EN: 1
; COMPUTE_PGM_RSRC2:TGID_Y_EN: 0
; COMPUTE_PGM_RSRC2:TGID_Z_EN: 0
; COMPUTE_PGM_RSRC2:TIDIG_COMP_CNT: 0
; COMPUTE_PGM_RSRC3_GFX90A:ACCUM_OFFSET: 1
; COMPUTE_PGM_RSRC3_GFX90A:TG_SPLIT: 0
	.section	.text._ZN7rocprim17ROCPRIM_304000_NS6detail18single_scan_kernelILb0ENS1_19wrapped_scan_configINS0_14default_configEN3c107complexIdEEEEPKS7_PS7_St10multipliesIS7_ES7_S7_EEvT1_mT4_T2_T3_,"axG",@progbits,_ZN7rocprim17ROCPRIM_304000_NS6detail18single_scan_kernelILb0ENS1_19wrapped_scan_configINS0_14default_configEN3c107complexIdEEEEPKS7_PS7_St10multipliesIS7_ES7_S7_EEvT1_mT4_T2_T3_,comdat
	.protected	_ZN7rocprim17ROCPRIM_304000_NS6detail18single_scan_kernelILb0ENS1_19wrapped_scan_configINS0_14default_configEN3c107complexIdEEEEPKS7_PS7_St10multipliesIS7_ES7_S7_EEvT1_mT4_T2_T3_ ; -- Begin function _ZN7rocprim17ROCPRIM_304000_NS6detail18single_scan_kernelILb0ENS1_19wrapped_scan_configINS0_14default_configEN3c107complexIdEEEEPKS7_PS7_St10multipliesIS7_ES7_S7_EEvT1_mT4_T2_T3_
	.globl	_ZN7rocprim17ROCPRIM_304000_NS6detail18single_scan_kernelILb0ENS1_19wrapped_scan_configINS0_14default_configEN3c107complexIdEEEEPKS7_PS7_St10multipliesIS7_ES7_S7_EEvT1_mT4_T2_T3_
	.p2align	8
	.type	_ZN7rocprim17ROCPRIM_304000_NS6detail18single_scan_kernelILb0ENS1_19wrapped_scan_configINS0_14default_configEN3c107complexIdEEEEPKS7_PS7_St10multipliesIS7_ES7_S7_EEvT1_mT4_T2_T3_,@function
_ZN7rocprim17ROCPRIM_304000_NS6detail18single_scan_kernelILb0ENS1_19wrapped_scan_configINS0_14default_configEN3c107complexIdEEEEPKS7_PS7_St10multipliesIS7_ES7_S7_EEvT1_mT4_T2_T3_: ; @_ZN7rocprim17ROCPRIM_304000_NS6detail18single_scan_kernelILb0ENS1_19wrapped_scan_configINS0_14default_configEN3c107complexIdEEEEPKS7_PS7_St10multipliesIS7_ES7_S7_EEvT1_mT4_T2_T3_
; %bb.0:
	s_load_dwordx4 s[28:31], s[0:1], 0x0
	v_mov_b32_e32 v119, 0
	v_lshlrev_b32_e32 v118, 4, v0
	s_waitcnt lgkmcnt(0)
	s_load_dwordx4 s[36:39], s[28:29], 0x0
	v_lshl_add_u64 v[58:59], s[28:29], 0, v[118:119]
	v_cmp_gt_u32_e64 s[14:15], s30, v0
	s_waitcnt lgkmcnt(0)
	v_mov_b64_e32 v[4:5], s[38:39]
	v_mov_b64_e32 v[2:3], s[36:37]
	s_and_saveexec_b64 s[2:3], s[14:15]
	s_cbranch_execz .LBB68_2
; %bb.1:
	global_load_dwordx4 v[2:5], v[58:59], off
.LBB68_2:
	s_or_b64 exec, exec, s[2:3]
	v_or_b32_e32 v1, 0x100, v0
	v_cmp_gt_u32_e64 s[2:3], s30, v1
	v_mov_b64_e32 v[8:9], s[38:39]
	v_mov_b64_e32 v[6:7], s[36:37]
	s_and_saveexec_b64 s[4:5], s[2:3]
	s_cbranch_execz .LBB68_4
; %bb.3:
	v_add_co_u32_e32 v6, vcc, 0x1000, v58
	s_nop 1
	v_addc_co_u32_e32 v7, vcc, 0, v59, vcc
	global_load_dwordx4 v[6:9], v[6:7], off
.LBB68_4:
	s_or_b64 exec, exec, s[4:5]
	v_or_b32_e32 v1, 0x200, v0
	v_cmp_gt_u32_e64 s[4:5], s30, v1
	v_mov_b64_e32 v[12:13], s[38:39]
	v_mov_b64_e32 v[10:11], s[36:37]
	s_and_saveexec_b64 s[6:7], s[4:5]
	s_cbranch_execz .LBB68_6
; %bb.5:
	v_add_co_u32_e32 v10, vcc, 0x2000, v58
	s_nop 1
	v_addc_co_u32_e32 v11, vcc, 0, v59, vcc
	global_load_dwordx4 v[10:13], v[10:11], off
.LBB68_6:
	s_or_b64 exec, exec, s[6:7]
	v_or_b32_e32 v1, 0x300, v0
	v_cmp_gt_u32_e64 s[6:7], s30, v1
	v_mov_b64_e32 v[16:17], s[38:39]
	v_mov_b64_e32 v[14:15], s[36:37]
	s_and_saveexec_b64 s[8:9], s[6:7]
	s_cbranch_execz .LBB68_8
; %bb.7:
	v_add_co_u32_e32 v14, vcc, 0x3000, v58
	s_nop 1
	v_addc_co_u32_e32 v15, vcc, 0, v59, vcc
	global_load_dwordx4 v[14:17], v[14:15], off
.LBB68_8:
	s_or_b64 exec, exec, s[8:9]
	v_or_b32_e32 v1, 0x400, v0
	v_cmp_gt_u32_e64 s[8:9], s30, v1
	v_mov_b64_e32 v[20:21], s[38:39]
	v_mov_b64_e32 v[18:19], s[36:37]
	s_and_saveexec_b64 s[10:11], s[8:9]
	s_cbranch_execz .LBB68_10
; %bb.9:
	v_add_co_u32_e32 v18, vcc, 0x4000, v58
	s_nop 1
	v_addc_co_u32_e32 v19, vcc, 0, v59, vcc
	global_load_dwordx4 v[18:21], v[18:19], off
.LBB68_10:
	s_or_b64 exec, exec, s[10:11]
	v_or_b32_e32 v1, 0x500, v0
	v_cmp_gt_u32_e64 s[10:11], s30, v1
	v_mov_b64_e32 v[24:25], s[38:39]
	v_mov_b64_e32 v[22:23], s[36:37]
	s_and_saveexec_b64 s[12:13], s[10:11]
	s_cbranch_execz .LBB68_12
; %bb.11:
	v_add_co_u32_e32 v22, vcc, 0x5000, v58
	s_nop 1
	v_addc_co_u32_e32 v23, vcc, 0, v59, vcc
	global_load_dwordx4 v[22:25], v[22:23], off
.LBB68_12:
	s_or_b64 exec, exec, s[12:13]
	v_or_b32_e32 v1, 0x600, v0
	v_cmp_gt_u32_e64 s[12:13], s30, v1
	v_mov_b64_e32 v[28:29], s[38:39]
	v_mov_b64_e32 v[26:27], s[36:37]
	s_and_saveexec_b64 s[16:17], s[12:13]
	s_cbranch_execz .LBB68_14
; %bb.13:
	v_add_co_u32_e32 v26, vcc, 0x6000, v58
	s_nop 1
	v_addc_co_u32_e32 v27, vcc, 0, v59, vcc
	global_load_dwordx4 v[26:29], v[26:27], off
.LBB68_14:
	s_or_b64 exec, exec, s[16:17]
	v_or_b32_e32 v1, 0x700, v0
	v_cmp_gt_u32_e64 s[16:17], s30, v1
	v_mov_b64_e32 v[32:33], s[38:39]
	v_mov_b64_e32 v[30:31], s[36:37]
	s_and_saveexec_b64 s[18:19], s[16:17]
	s_cbranch_execz .LBB68_16
; %bb.15:
	v_add_co_u32_e32 v30, vcc, 0x7000, v58
	s_nop 1
	v_addc_co_u32_e32 v31, vcc, 0, v59, vcc
	global_load_dwordx4 v[30:33], v[30:31], off
.LBB68_16:
	s_or_b64 exec, exec, s[18:19]
	v_or_b32_e32 v1, 0x800, v0
	v_cmp_gt_u32_e64 s[18:19], s30, v1
	v_mov_b64_e32 v[36:37], s[38:39]
	v_mov_b64_e32 v[34:35], s[36:37]
	s_and_saveexec_b64 s[20:21], s[18:19]
	s_cbranch_execz .LBB68_18
; %bb.17:
	v_add_co_u32_e32 v34, vcc, 0x8000, v58
	s_nop 1
	v_addc_co_u32_e32 v35, vcc, 0, v59, vcc
	global_load_dwordx4 v[34:37], v[34:35], off
.LBB68_18:
	s_or_b64 exec, exec, s[20:21]
	v_or_b32_e32 v1, 0x900, v0
	v_cmp_gt_u32_e64 s[20:21], s30, v1
	v_mov_b64_e32 v[40:41], s[38:39]
	v_mov_b64_e32 v[38:39], s[36:37]
	s_and_saveexec_b64 s[22:23], s[20:21]
	s_cbranch_execz .LBB68_20
; %bb.19:
	v_add_co_u32_e32 v38, vcc, 0x9000, v58
	s_nop 1
	v_addc_co_u32_e32 v39, vcc, 0, v59, vcc
	global_load_dwordx4 v[38:41], v[38:39], off
.LBB68_20:
	s_or_b64 exec, exec, s[22:23]
	v_or_b32_e32 v1, 0xa00, v0
	v_cmp_gt_u32_e64 s[22:23], s30, v1
	v_mov_b64_e32 v[44:45], s[38:39]
	v_mov_b64_e32 v[42:43], s[36:37]
	s_and_saveexec_b64 s[24:25], s[22:23]
	s_cbranch_execz .LBB68_22
; %bb.21:
	v_add_co_u32_e32 v42, vcc, 0xa000, v58
	s_nop 1
	v_addc_co_u32_e32 v43, vcc, 0, v59, vcc
	global_load_dwordx4 v[42:45], v[42:43], off
.LBB68_22:
	s_or_b64 exec, exec, s[24:25]
	v_or_b32_e32 v1, 0xb00, v0
	v_cmp_gt_u32_e64 s[24:25], s30, v1
	v_mov_b64_e32 v[48:49], s[38:39]
	v_mov_b64_e32 v[46:47], s[36:37]
	s_and_saveexec_b64 s[26:27], s[24:25]
	s_cbranch_execz .LBB68_24
; %bb.23:
	v_add_co_u32_e32 v46, vcc, 0xb000, v58
	s_nop 1
	v_addc_co_u32_e32 v47, vcc, 0, v59, vcc
	global_load_dwordx4 v[46:49], v[46:47], off
.LBB68_24:
	s_or_b64 exec, exec, s[26:27]
	v_or_b32_e32 v1, 0xc00, v0
	v_cmp_gt_u32_e64 s[26:27], s30, v1
	v_mov_b64_e32 v[52:53], s[38:39]
	v_mov_b64_e32 v[50:51], s[36:37]
	s_and_saveexec_b64 s[28:29], s[26:27]
	s_cbranch_execz .LBB68_26
; %bb.25:
	v_add_co_u32_e32 v50, vcc, 0xc000, v58
	s_nop 1
	v_addc_co_u32_e32 v51, vcc, 0, v59, vcc
	global_load_dwordx4 v[50:53], v[50:51], off
.LBB68_26:
	s_or_b64 exec, exec, s[28:29]
	v_or_b32_e32 v1, 0xd00, v0
	v_cmp_gt_u32_e64 s[28:29], s30, v1
	v_mov_b64_e32 v[56:57], s[38:39]
	v_mov_b64_e32 v[54:55], s[36:37]
	s_and_saveexec_b64 s[30:31], s[28:29]
	s_cbranch_execz .LBB68_28
; %bb.27:
	v_add_co_u32_e32 v54, vcc, 0xd000, v58
	s_nop 1
	v_addc_co_u32_e32 v55, vcc, 0, v59, vcc
	global_load_dwordx4 v[54:57], v[54:55], off
.LBB68_28:
	s_or_b64 exec, exec, s[30:31]
	s_movk_i32 s30, 0xd0
	v_mad_u32_u24 v1, v0, s30, v118
	s_waitcnt vmcnt(0)
	ds_write_b128 v118, v[2:5]
	ds_write_b128 v118, v[6:9] offset:4096
	ds_write_b128 v118, v[10:13] offset:8192
	;; [unrolled: 1-line block ×13, first 2 shown]
	s_waitcnt lgkmcnt(0)
	s_barrier
	ds_read_b128 v[2:5], v1
	ds_read_b128 v[14:17], v1 offset:16
	ds_read_b128 v[10:13], v1 offset:32
	;; [unrolled: 1-line block ×13, first 2 shown]
	s_waitcnt lgkmcnt(12)
	v_mul_f64 v[18:19], v[4:5], v[16:17]
	v_mul_f64 v[20:21], v[2:3], v[16:17]
	v_fma_f64 v[18:19], v[2:3], v[14:15], -v[18:19]
	v_fmac_f64_e32 v[20:21], v[4:5], v[14:15]
	s_waitcnt lgkmcnt(11)
	v_mul_f64 v[22:23], v[20:21], v[12:13]
	v_mul_f64 v[24:25], v[18:19], v[12:13]
	v_fma_f64 v[22:23], v[10:11], v[18:19], -v[22:23]
	v_fmac_f64_e32 v[24:25], v[10:11], v[20:21]
	;; [unrolled: 5-line block ×12, first 2 shown]
	v_mbcnt_lo_u32_b32 v110, -1, 0
	s_waitcnt lgkmcnt(0)
	v_mul_f64 v[66:67], v[64:65], v[108:109]
	v_mul_f64 v[68:69], v[62:63], v[108:109]
	v_mbcnt_hi_u32_b32 v119, -1, v110
	v_fma_f64 v[66:67], v[106:107], v[62:63], -v[66:67]
	v_fmac_f64_e32 v[68:69], v[106:107], v[64:65]
	v_and_b32_e32 v124, 15, v119
	v_mov_b32_dpp v120, v66 row_shr:1 row_mask:0xf bank_mask:0xf
	v_mov_b32_dpp v121, v67 row_shr:1 row_mask:0xf bank_mask:0xf
	;; [unrolled: 1-line block ×4, first 2 shown]
	v_cmp_ne_u32_e32 vcc, 0, v124
	v_mov_b64_e32 v[110:111], v[66:67]
	v_mov_b64_e32 v[112:113], v[68:69]
	v_mov_b32_e32 v115, v69
	v_mov_b32_e32 v114, v68
	;; [unrolled: 1-line block ×4, first 2 shown]
	s_barrier
	s_and_saveexec_b64 s[30:31], vcc
; %bb.29:
	v_mul_f64 v[112:113], v[66:67], v[122:123]
	v_mul_f64 v[110:111], v[68:69], v[122:123]
	v_fmac_f64_e32 v[112:113], v[68:69], v[120:121]
	v_fma_f64 v[110:111], v[66:67], v[120:121], -v[110:111]
	v_mov_b32_e32 v115, v113
	v_mov_b32_e32 v114, v112
	;; [unrolled: 1-line block ×4, first 2 shown]
; %bb.30:
	s_or_b64 exec, exec, s[30:31]
	s_nop 0
	v_mov_b32_dpp v120, v116 row_shr:2 row_mask:0xf bank_mask:0xf
	v_mov_b32_dpp v121, v117 row_shr:2 row_mask:0xf bank_mask:0xf
	v_mov_b32_dpp v122, v114 row_shr:2 row_mask:0xf bank_mask:0xf
	v_mov_b32_dpp v123, v115 row_shr:2 row_mask:0xf bank_mask:0xf
	v_cmp_lt_u32_e32 vcc, 1, v124
	s_and_saveexec_b64 s[30:31], vcc
; %bb.31:
	v_mul_f64 v[114:115], v[110:111], v[122:123]
	v_fmac_f64_e32 v[114:115], v[112:113], v[120:121]
	v_mul_f64 v[112:113], v[112:113], v[122:123]
	v_fma_f64 v[116:117], v[110:111], v[120:121], -v[112:113]
	v_mov_b64_e32 v[112:113], v[114:115]
	v_mov_b64_e32 v[110:111], v[116:117]
; %bb.32:
	s_or_b64 exec, exec, s[30:31]
	v_mov_b32_dpp v120, v116 row_shr:4 row_mask:0xf bank_mask:0xf
	v_mov_b32_dpp v121, v117 row_shr:4 row_mask:0xf bank_mask:0xf
	v_mov_b32_dpp v122, v114 row_shr:4 row_mask:0xf bank_mask:0xf
	v_mov_b32_dpp v123, v115 row_shr:4 row_mask:0xf bank_mask:0xf
	v_cmp_lt_u32_e32 vcc, 3, v124
	s_and_saveexec_b64 s[30:31], vcc
; %bb.33:
	v_mul_f64 v[114:115], v[110:111], v[122:123]
	v_fmac_f64_e32 v[114:115], v[112:113], v[120:121]
	v_mul_f64 v[112:113], v[112:113], v[122:123]
	v_fma_f64 v[116:117], v[110:111], v[120:121], -v[112:113]
	v_mov_b64_e32 v[112:113], v[114:115]
	v_mov_b64_e32 v[110:111], v[116:117]
; %bb.34:
	s_or_b64 exec, exec, s[30:31]
	;; [unrolled: 15-line block ×3, first 2 shown]
	v_and_b32_e32 v124, 16, v119
	v_mov_b32_dpp v120, v116 row_bcast:15 row_mask:0xf bank_mask:0xf
	v_mov_b32_dpp v121, v117 row_bcast:15 row_mask:0xf bank_mask:0xf
	;; [unrolled: 1-line block ×4, first 2 shown]
	v_cmp_ne_u32_e32 vcc, 0, v124
	s_and_saveexec_b64 s[30:31], vcc
; %bb.37:
	v_mul_f64 v[114:115], v[110:111], v[122:123]
	v_fmac_f64_e32 v[114:115], v[112:113], v[120:121]
	v_mul_f64 v[112:113], v[112:113], v[122:123]
	v_fma_f64 v[110:111], v[110:111], v[120:121], -v[112:113]
	v_mov_b64_e32 v[112:113], v[114:115]
	v_mov_b32_e32 v117, v111
	v_mov_b32_e32 v116, v110
; %bb.38:
	s_or_b64 exec, exec, s[30:31]
	s_nop 0
	v_mov_b32_dpp v116, v116 row_bcast:31 row_mask:0xf bank_mask:0xf
	v_mov_b32_dpp v117, v117 row_bcast:31 row_mask:0xf bank_mask:0xf
	;; [unrolled: 1-line block ×4, first 2 shown]
	v_cmp_lt_u32_e32 vcc, 31, v119
	s_and_saveexec_b64 s[30:31], vcc
; %bb.39:
	v_mul_f64 v[120:121], v[110:111], v[114:115]
	v_fmac_f64_e32 v[120:121], v[112:113], v[116:117]
	v_mul_f64 v[112:113], v[112:113], v[114:115]
	v_fma_f64 v[110:111], v[110:111], v[116:117], -v[112:113]
	v_mov_b64_e32 v[112:113], v[120:121]
; %bb.40:
	s_or_b64 exec, exec, s[30:31]
	v_or_b32_e32 v114, 63, v0
	v_lshrrev_b32_e32 v126, 6, v0
	v_cmp_eq_u32_e32 vcc, v114, v0
	s_and_saveexec_b64 s[30:31], vcc
	s_cbranch_execz .LBB68_42
; %bb.41:
	v_lshlrev_b32_e32 v114, 4, v126
	ds_write_b128 v114, v[110:113]
.LBB68_42:
	s_or_b64 exec, exec, s[30:31]
	v_cmp_gt_u32_e32 vcc, 4, v0
	s_waitcnt lgkmcnt(0)
	s_barrier
	s_and_saveexec_b64 s[30:31], vcc
	s_cbranch_execz .LBB68_48
; %bb.43:
	ds_read_b128 v[114:117], v118
	v_and_b32_e32 v127, 3, v119
	v_cmp_ne_u32_e32 vcc, 0, v127
	s_waitcnt lgkmcnt(0)
	v_mov_b32_dpp v122, v114 row_shr:1 row_mask:0xf bank_mask:0xf
	v_mov_b32_dpp v123, v115 row_shr:1 row_mask:0xf bank_mask:0xf
	;; [unrolled: 1-line block ×4, first 2 shown]
	v_mov_b32_e32 v121, v117
	v_mov_b32_e32 v120, v116
	s_and_saveexec_b64 s[34:35], vcc
; %bb.44:
	v_mul_f64 v[120:121], v[116:117], v[122:123]
	v_fmac_f64_e32 v[120:121], v[114:115], v[124:125]
	v_mul_f64 v[116:117], v[116:117], v[124:125]
	v_fma_f64 v[114:115], v[114:115], v[122:123], -v[116:117]
	v_mov_b64_e32 v[116:117], v[120:121]
; %bb.45:
	s_or_b64 exec, exec, s[34:35]
	v_mov_b32_dpp v122, v114 row_shr:2 row_mask:0xf bank_mask:0xf
	v_mov_b32_dpp v123, v115 row_shr:2 row_mask:0xf bank_mask:0xf
	;; [unrolled: 1-line block ×4, first 2 shown]
	v_cmp_lt_u32_e32 vcc, 1, v127
	s_and_saveexec_b64 s[34:35], vcc
; %bb.46:
	v_mul_f64 v[124:125], v[114:115], v[120:121]
	v_fmac_f64_e32 v[124:125], v[116:117], v[122:123]
	v_mul_f64 v[116:117], v[116:117], v[120:121]
	v_fma_f64 v[114:115], v[114:115], v[122:123], -v[116:117]
	v_mov_b64_e32 v[116:117], v[124:125]
; %bb.47:
	s_or_b64 exec, exec, s[34:35]
	ds_write_b128 v118, v[114:117]
.LBB68_48:
	s_or_b64 exec, exec, s[30:31]
	v_mov_b64_e32 v[116:117], 0
	v_cmp_lt_u32_e32 vcc, 63, v0
	v_mov_b64_e32 v[114:115], v[116:117]
	s_waitcnt lgkmcnt(0)
	s_barrier
	s_and_saveexec_b64 s[30:31], vcc
	s_cbranch_execz .LBB68_50
; %bb.49:
	v_lshl_add_u32 v114, v126, 4, -16
	ds_read_b128 v[114:117], v114
	s_waitcnt lgkmcnt(0)
	v_mul_f64 v[122:123], v[110:111], v[116:117]
	v_mul_f64 v[120:121], v[112:113], v[116:117]
	v_fmac_f64_e32 v[122:123], v[112:113], v[114:115]
	v_fma_f64 v[110:111], v[110:111], v[114:115], -v[120:121]
	v_mov_b64_e32 v[112:113], v[122:123]
.LBB68_50:
	s_or_b64 exec, exec, s[30:31]
	v_add_u32_e32 v120, -1, v119
	v_and_b32_e32 v121, 64, v119
	v_cmp_lt_i32_e32 vcc, v120, v121
	s_nop 1
	v_cndmask_b32_e32 v120, v120, v119, vcc
	v_lshlrev_b32_e32 v120, 2, v120
	ds_bpermute_b32 v110, v120, v110
	ds_bpermute_b32 v111, v120, v111
	;; [unrolled: 1-line block ×4, first 2 shown]
	v_cmp_ne_u32_e32 vcc, 0, v0
	s_and_saveexec_b64 s[30:31], vcc
	s_cbranch_execz .LBB68_52
; %bb.51:
	v_cmp_eq_u32_e32 vcc, 0, v119
	s_waitcnt lgkmcnt(0)
	s_nop 0
	v_cndmask_b32_e32 v19, v113, v117, vcc
	v_cndmask_b32_e32 v18, v112, v116, vcc
	;; [unrolled: 1-line block ×4, first 2 shown]
	v_mul_f64 v[22:23], v[4:5], v[18:19]
	v_fma_f64 v[110:111], v[2:3], v[20:21], -v[22:23]
	v_mul_f64 v[2:3], v[2:3], v[18:19]
	v_fmac_f64_e32 v[2:3], v[4:5], v[20:21]
	v_mul_f64 v[4:5], v[16:17], v[2:3]
	v_mul_f64 v[20:21], v[16:17], v[110:111]
	v_fma_f64 v[18:19], v[14:15], v[110:111], -v[4:5]
	v_fmac_f64_e32 v[20:21], v[14:15], v[2:3]
	v_mul_f64 v[4:5], v[12:13], v[20:21]
	v_mul_f64 v[24:25], v[12:13], v[18:19]
	v_fma_f64 v[22:23], v[10:11], v[18:19], -v[4:5]
	;; [unrolled: 4-line block ×13, first 2 shown]
	v_fmac_f64_e32 v[68:69], v[106:107], v[64:65]
	v_mov_b64_e32 v[4:5], v[2:3]
	v_mov_b64_e32 v[2:3], v[110:111]
.LBB68_52:
	s_or_b64 exec, exec, s[30:31]
	s_movk_i32 s30, 0xff30
	v_mad_i32_i24 v0, v0, s30, v1
	s_waitcnt lgkmcnt(0)
	s_barrier
	ds_write_b128 v1, v[2:5]
	ds_write_b128 v1, v[18:21] offset:16
	ds_write_b128 v1, v[22:25] offset:32
	;; [unrolled: 1-line block ×13, first 2 shown]
	s_waitcnt lgkmcnt(0)
	s_barrier
	ds_read_b128 v[48:51], v0 offset:4096
	ds_read_b128 v[44:47], v0 offset:8192
	ds_read_b128 v[36:39], v118 offset:16384
	ds_read_b128 v[40:43], v0 offset:12288
	ds_read_b128 v[32:35], v0 offset:20480
	ds_read_b128 v[28:31], v0 offset:24576
	ds_read_b128 v[24:27], v0 offset:28672
	ds_read_b128 v[16:19], v0 offset:36864
	ds_read_b128 v[12:15], v0 offset:40960
	ds_read_b128 v[20:23], v118 offset:32768
	ds_read_b128 v[4:7], v118 offset:49152
	ds_read_b128 v[8:11], v0 offset:45056
	ds_read_b128 v[0:3], v0 offset:53248
	s_load_dwordx2 s[0:1], s[0:1], 0x20
	v_mov_b32_e32 v119, 0
	s_waitcnt lgkmcnt(0)
	v_lshl_add_u64 v[52:53], s[0:1], 0, v[118:119]
	s_and_saveexec_b64 s[0:1], s[14:15]
	s_cbranch_execnz .LBB68_67
; %bb.53:
	s_or_b64 exec, exec, s[0:1]
	s_and_saveexec_b64 s[0:1], s[2:3]
	s_cbranch_execnz .LBB68_68
.LBB68_54:
	s_or_b64 exec, exec, s[0:1]
	s_and_saveexec_b64 s[0:1], s[4:5]
	s_cbranch_execnz .LBB68_69
.LBB68_55:
	s_or_b64 exec, exec, s[0:1]
	s_and_saveexec_b64 s[0:1], s[6:7]
	s_cbranch_execnz .LBB68_70
.LBB68_56:
	s_or_b64 exec, exec, s[0:1]
	s_and_saveexec_b64 s[0:1], s[8:9]
	s_cbranch_execnz .LBB68_71
.LBB68_57:
	s_or_b64 exec, exec, s[0:1]
	s_and_saveexec_b64 s[0:1], s[10:11]
	s_cbranch_execnz .LBB68_72
.LBB68_58:
	s_or_b64 exec, exec, s[0:1]
	s_and_saveexec_b64 s[0:1], s[12:13]
	s_cbranch_execnz .LBB68_73
.LBB68_59:
	s_or_b64 exec, exec, s[0:1]
	s_and_saveexec_b64 s[0:1], s[16:17]
	s_cbranch_execnz .LBB68_74
.LBB68_60:
	s_or_b64 exec, exec, s[0:1]
	s_and_saveexec_b64 s[0:1], s[18:19]
	s_cbranch_execnz .LBB68_75
.LBB68_61:
	s_or_b64 exec, exec, s[0:1]
	s_and_saveexec_b64 s[0:1], s[20:21]
	s_cbranch_execnz .LBB68_76
.LBB68_62:
	s_or_b64 exec, exec, s[0:1]
	s_and_saveexec_b64 s[0:1], s[22:23]
	s_cbranch_execnz .LBB68_77
.LBB68_63:
	s_or_b64 exec, exec, s[0:1]
	s_and_saveexec_b64 s[0:1], s[24:25]
	s_cbranch_execnz .LBB68_78
.LBB68_64:
	s_or_b64 exec, exec, s[0:1]
	s_and_saveexec_b64 s[0:1], s[26:27]
	s_cbranch_execnz .LBB68_79
.LBB68_65:
	s_or_b64 exec, exec, s[0:1]
	s_and_saveexec_b64 s[0:1], s[28:29]
	s_cbranch_execnz .LBB68_80
.LBB68_66:
	s_endpgm
.LBB68_67:
	ds_read_b128 v[54:57], v118
	s_waitcnt lgkmcnt(0)
	global_store_dwordx4 v[52:53], v[54:57], off
	s_or_b64 exec, exec, s[0:1]
	s_and_saveexec_b64 s[0:1], s[2:3]
	s_cbranch_execz .LBB68_54
.LBB68_68:
	v_add_co_u32_e32 v54, vcc, 0x1000, v52
	s_nop 1
	v_addc_co_u32_e32 v55, vcc, 0, v53, vcc
	global_store_dwordx4 v[54:55], v[48:51], off
	s_or_b64 exec, exec, s[0:1]
	s_and_saveexec_b64 s[0:1], s[4:5]
	s_cbranch_execz .LBB68_55
.LBB68_69:
	v_add_co_u32_e32 v48, vcc, 0x2000, v52
	s_nop 1
	v_addc_co_u32_e32 v49, vcc, 0, v53, vcc
	global_store_dwordx4 v[48:49], v[44:47], off
	s_or_b64 exec, exec, s[0:1]
	s_and_saveexec_b64 s[0:1], s[6:7]
	s_cbranch_execz .LBB68_56
.LBB68_70:
	v_add_co_u32_e32 v44, vcc, 0x3000, v52
	s_nop 1
	v_addc_co_u32_e32 v45, vcc, 0, v53, vcc
	global_store_dwordx4 v[44:45], v[40:43], off
	s_or_b64 exec, exec, s[0:1]
	s_and_saveexec_b64 s[0:1], s[8:9]
	s_cbranch_execz .LBB68_57
.LBB68_71:
	v_add_co_u32_e32 v40, vcc, 0x4000, v52
	s_nop 1
	v_addc_co_u32_e32 v41, vcc, 0, v53, vcc
	global_store_dwordx4 v[40:41], v[36:39], off
	s_or_b64 exec, exec, s[0:1]
	s_and_saveexec_b64 s[0:1], s[10:11]
	s_cbranch_execz .LBB68_58
.LBB68_72:
	v_add_co_u32_e32 v36, vcc, 0x5000, v52
	s_nop 1
	v_addc_co_u32_e32 v37, vcc, 0, v53, vcc
	global_store_dwordx4 v[36:37], v[32:35], off
	s_or_b64 exec, exec, s[0:1]
	s_and_saveexec_b64 s[0:1], s[12:13]
	s_cbranch_execz .LBB68_59
.LBB68_73:
	v_add_co_u32_e32 v32, vcc, 0x6000, v52
	s_nop 1
	v_addc_co_u32_e32 v33, vcc, 0, v53, vcc
	global_store_dwordx4 v[32:33], v[28:31], off
	s_or_b64 exec, exec, s[0:1]
	s_and_saveexec_b64 s[0:1], s[16:17]
	s_cbranch_execz .LBB68_60
.LBB68_74:
	v_add_co_u32_e32 v28, vcc, 0x7000, v52
	s_nop 1
	v_addc_co_u32_e32 v29, vcc, 0, v53, vcc
	global_store_dwordx4 v[28:29], v[24:27], off
	s_or_b64 exec, exec, s[0:1]
	s_and_saveexec_b64 s[0:1], s[18:19]
	s_cbranch_execz .LBB68_61
.LBB68_75:
	v_add_co_u32_e32 v24, vcc, 0x8000, v52
	s_nop 1
	v_addc_co_u32_e32 v25, vcc, 0, v53, vcc
	global_store_dwordx4 v[24:25], v[20:23], off
	s_or_b64 exec, exec, s[0:1]
	s_and_saveexec_b64 s[0:1], s[20:21]
	s_cbranch_execz .LBB68_62
.LBB68_76:
	v_add_co_u32_e32 v20, vcc, 0x9000, v52
	s_nop 1
	v_addc_co_u32_e32 v21, vcc, 0, v53, vcc
	global_store_dwordx4 v[20:21], v[16:19], off
	s_or_b64 exec, exec, s[0:1]
	s_and_saveexec_b64 s[0:1], s[22:23]
	s_cbranch_execz .LBB68_63
.LBB68_77:
	v_add_co_u32_e32 v16, vcc, 0xa000, v52
	s_nop 1
	v_addc_co_u32_e32 v17, vcc, 0, v53, vcc
	global_store_dwordx4 v[16:17], v[12:15], off
	s_or_b64 exec, exec, s[0:1]
	s_and_saveexec_b64 s[0:1], s[24:25]
	s_cbranch_execz .LBB68_64
.LBB68_78:
	v_add_co_u32_e32 v12, vcc, 0xb000, v52
	s_nop 1
	v_addc_co_u32_e32 v13, vcc, 0, v53, vcc
	global_store_dwordx4 v[12:13], v[8:11], off
	s_or_b64 exec, exec, s[0:1]
	s_and_saveexec_b64 s[0:1], s[26:27]
	s_cbranch_execz .LBB68_65
.LBB68_79:
	v_add_co_u32_e32 v8, vcc, 0xc000, v52
	s_nop 1
	v_addc_co_u32_e32 v9, vcc, 0, v53, vcc
	global_store_dwordx4 v[8:9], v[4:7], off
	s_or_b64 exec, exec, s[0:1]
	s_and_saveexec_b64 s[0:1], s[28:29]
	s_cbranch_execz .LBB68_66
.LBB68_80:
	v_add_co_u32_e32 v4, vcc, 0xd000, v52
	s_nop 1
	v_addc_co_u32_e32 v5, vcc, 0, v53, vcc
	global_store_dwordx4 v[4:5], v[0:3], off
	s_endpgm
	.section	.rodata,"a",@progbits
	.p2align	6, 0x0
	.amdhsa_kernel _ZN7rocprim17ROCPRIM_304000_NS6detail18single_scan_kernelILb0ENS1_19wrapped_scan_configINS0_14default_configEN3c107complexIdEEEEPKS7_PS7_St10multipliesIS7_ES7_S7_EEvT1_mT4_T2_T3_
		.amdhsa_group_segment_fixed_size 57344
		.amdhsa_private_segment_fixed_size 0
		.amdhsa_kernarg_size 44
		.amdhsa_user_sgpr_count 2
		.amdhsa_user_sgpr_dispatch_ptr 0
		.amdhsa_user_sgpr_queue_ptr 0
		.amdhsa_user_sgpr_kernarg_segment_ptr 1
		.amdhsa_user_sgpr_dispatch_id 0
		.amdhsa_user_sgpr_kernarg_preload_length 0
		.amdhsa_user_sgpr_kernarg_preload_offset 0
		.amdhsa_user_sgpr_private_segment_size 0
		.amdhsa_uses_dynamic_stack 0
		.amdhsa_enable_private_segment 0
		.amdhsa_system_sgpr_workgroup_id_x 1
		.amdhsa_system_sgpr_workgroup_id_y 0
		.amdhsa_system_sgpr_workgroup_id_z 0
		.amdhsa_system_sgpr_workgroup_info 0
		.amdhsa_system_vgpr_workitem_id 0
		.amdhsa_next_free_vgpr 128
		.amdhsa_next_free_sgpr 40
		.amdhsa_accum_offset 128
		.amdhsa_reserve_vcc 1
		.amdhsa_float_round_mode_32 0
		.amdhsa_float_round_mode_16_64 0
		.amdhsa_float_denorm_mode_32 3
		.amdhsa_float_denorm_mode_16_64 3
		.amdhsa_dx10_clamp 1
		.amdhsa_ieee_mode 1
		.amdhsa_fp16_overflow 0
		.amdhsa_tg_split 0
		.amdhsa_exception_fp_ieee_invalid_op 0
		.amdhsa_exception_fp_denorm_src 0
		.amdhsa_exception_fp_ieee_div_zero 0
		.amdhsa_exception_fp_ieee_overflow 0
		.amdhsa_exception_fp_ieee_underflow 0
		.amdhsa_exception_fp_ieee_inexact 0
		.amdhsa_exception_int_div_zero 0
	.end_amdhsa_kernel
	.section	.text._ZN7rocprim17ROCPRIM_304000_NS6detail18single_scan_kernelILb0ENS1_19wrapped_scan_configINS0_14default_configEN3c107complexIdEEEEPKS7_PS7_St10multipliesIS7_ES7_S7_EEvT1_mT4_T2_T3_,"axG",@progbits,_ZN7rocprim17ROCPRIM_304000_NS6detail18single_scan_kernelILb0ENS1_19wrapped_scan_configINS0_14default_configEN3c107complexIdEEEEPKS7_PS7_St10multipliesIS7_ES7_S7_EEvT1_mT4_T2_T3_,comdat
.Lfunc_end68:
	.size	_ZN7rocprim17ROCPRIM_304000_NS6detail18single_scan_kernelILb0ENS1_19wrapped_scan_configINS0_14default_configEN3c107complexIdEEEEPKS7_PS7_St10multipliesIS7_ES7_S7_EEvT1_mT4_T2_T3_, .Lfunc_end68-_ZN7rocprim17ROCPRIM_304000_NS6detail18single_scan_kernelILb0ENS1_19wrapped_scan_configINS0_14default_configEN3c107complexIdEEEEPKS7_PS7_St10multipliesIS7_ES7_S7_EEvT1_mT4_T2_T3_
                                        ; -- End function
	.section	.AMDGPU.csdata,"",@progbits
; Kernel info:
; codeLenInByte = 3824
; NumSgprs: 46
; NumVgprs: 128
; NumAgprs: 0
; TotalNumVgprs: 128
; ScratchSize: 0
; MemoryBound: 1
; FloatMode: 240
; IeeeMode: 1
; LDSByteSize: 57344 bytes/workgroup (compile time only)
; SGPRBlocks: 5
; VGPRBlocks: 15
; NumSGPRsForWavesPerEU: 46
; NumVGPRsForWavesPerEU: 128
; AccumOffset: 128
; Occupancy: 1
; WaveLimiterHint : 0
; COMPUTE_PGM_RSRC2:SCRATCH_EN: 0
; COMPUTE_PGM_RSRC2:USER_SGPR: 2
; COMPUTE_PGM_RSRC2:TRAP_HANDLER: 0
; COMPUTE_PGM_RSRC2:TGID_X_EN: 1
; COMPUTE_PGM_RSRC2:TGID_Y_EN: 0
; COMPUTE_PGM_RSRC2:TGID_Z_EN: 0
; COMPUTE_PGM_RSRC2:TIDIG_COMP_CNT: 0
; COMPUTE_PGM_RSRC3_GFX90A:ACCUM_OFFSET: 31
; COMPUTE_PGM_RSRC3_GFX90A:TG_SPLIT: 0
	.section	.text._ZN2at6native32tensor_kernel_scan_innermost_dimIN3c107complexIdEESt10multipliesIS4_EEEvPT_PKS7_jjjS7_T0_,"axG",@progbits,_ZN2at6native32tensor_kernel_scan_innermost_dimIN3c107complexIdEESt10multipliesIS4_EEEvPT_PKS7_jjjS7_T0_,comdat
	.protected	_ZN2at6native32tensor_kernel_scan_innermost_dimIN3c107complexIdEESt10multipliesIS4_EEEvPT_PKS7_jjjS7_T0_ ; -- Begin function _ZN2at6native32tensor_kernel_scan_innermost_dimIN3c107complexIdEESt10multipliesIS4_EEEvPT_PKS7_jjjS7_T0_
	.globl	_ZN2at6native32tensor_kernel_scan_innermost_dimIN3c107complexIdEESt10multipliesIS4_EEEvPT_PKS7_jjjS7_T0_
	.p2align	8
	.type	_ZN2at6native32tensor_kernel_scan_innermost_dimIN3c107complexIdEESt10multipliesIS4_EEEvPT_PKS7_jjjS7_T0_,@function
_ZN2at6native32tensor_kernel_scan_innermost_dimIN3c107complexIdEESt10multipliesIS4_EEEvPT_PKS7_jjjS7_T0_: ; @_ZN2at6native32tensor_kernel_scan_innermost_dimIN3c107complexIdEESt10multipliesIS4_EEEvPT_PKS7_jjjS7_T0_
; %bb.0:
	s_load_dwordx8 s[12:19], s[0:1], 0x0
	s_load_dwordx4 s[20:23], s[0:1], 0x20
	v_bfe_u32 v6, v0, 10, 10
	s_waitcnt lgkmcnt(0)
	s_lshl_b32 s3, 2, s18
	v_mul_lo_u32 v1, s3, v6
	s_mul_hi_u32 s4, s16, s17
	s_mov_b32 s24, s16
	v_lshl_add_u32 v16, v1, 4, 0
	s_cmp_lg_u32 s4, 0
	s_mov_b64 s[4:5], -1
	s_cbranch_scc1 .LBB69_30
; %bb.1:
	s_load_dword s6, s[0:1], 0x44
	s_add_u32 s4, s0, 56
	s_addc_u32 s5, s1, 0
	s_waitcnt lgkmcnt(0)
	s_lshr_b32 s6, s6, 16
	s_mul_i32 s19, s2, s6
	s_cmp_ge_u32 s19, s16
	s_cbranch_scc1 .LBB69_29
; %bb.2:
	s_load_dword s30, s[4:5], 0x0
	s_lshl_b32 s25, 1, s18
	s_cmp_lg_u32 s17, 0
	v_and_b32_e32 v1, 0x3ff, v0
	s_cselect_b64 s[4:5], -1, 0
	v_lshl_add_u32 v7, v1, 4, v16
	s_lshl_b32 s7, s3, 4
	v_cndmask_b32_e64 v2, 0, 1, s[4:5]
	v_lshl_add_u32 v17, s25, 4, v7
	v_cmp_eq_u32_e64 s[8:9], 0, v1
	v_add3_u32 v18, v16, s7, -16
	s_waitcnt lgkmcnt(0)
	s_mul_i32 s30, s30, s6
	s_add_i32 s31, s18, 1
	v_cmp_ne_u32_e64 s[4:5], 1, v2
	v_mov_b32_e32 v9, 0
	s_branch .LBB69_4
.LBB69_3:                               ;   in Loop: Header=BB69_4 Depth=1
	s_add_i32 s19, s19, s30
	s_cmp_ge_u32 s19, s16
	s_cbranch_scc1 .LBB69_29
.LBB69_4:                               ; =>This Loop Header: Depth=1
                                        ;     Child Loop BB69_7 Depth 2
                                        ;       Child Loop BB69_18 Depth 3
	s_and_b64 vcc, exec, s[4:5]
	s_cbranch_vccnz .LBB69_3
; %bb.5:                                ;   in Loop: Header=BB69_4 Depth=1
	v_add_u32_e32 v4, s19, v6
	v_mul_lo_u32 v8, v4, s17
	v_lshlrev_b64 v[2:3], 4, v[8:9]
	v_lshl_add_u64 v[10:11], s[14:15], 0, v[2:3]
	v_lshl_add_u64 v[12:13], s[12:13], 0, v[2:3]
	v_cmp_gt_u32_e32 vcc, s16, v4
	v_cmp_le_u32_e64 s[6:7], s16, v4
	s_mov_b32 s33, 0
	v_mov_b64_e32 v[2:3], s[20:21]
	v_mov_b64_e32 v[4:5], s[22:23]
	s_branch .LBB69_7
.LBB69_6:                               ;   in Loop: Header=BB69_7 Depth=2
	s_or_b64 exec, exec, s[26:27]
	ds_read_b128 v[2:5], v18
	s_add_i32 s33, s33, s3
	s_cmp_ge_u32 s33, s17
	s_waitcnt lgkmcnt(0)
	s_barrier
	s_cbranch_scc1 .LBB69_3
.LBB69_7:                               ;   Parent Loop BB69_4 Depth=1
                                        ; =>  This Loop Header: Depth=2
                                        ;       Child Loop BB69_18 Depth 3
	v_add_u32_e32 v8, s33, v1
	v_add_u32_e32 v14, s25, v8
	s_and_saveexec_b64 s[26:27], vcc
	s_cbranch_execz .LBB69_16
; %bb.8:                                ;   in Loop: Header=BB69_7 Depth=2
	v_cmp_le_u32_e64 s[10:11], s17, v8
	s_and_saveexec_b64 s[28:29], s[10:11]
	s_xor_b64 s[10:11], exec, s[28:29]
	s_cbranch_execz .LBB69_10
; %bb.9:                                ;   in Loop: Header=BB69_7 Depth=2
	v_mov_b32_e32 v20, s20
	v_mov_b32_e32 v21, s21
	;; [unrolled: 1-line block ×4, first 2 shown]
	ds_write_b128 v7, v[20:23]
.LBB69_10:                              ;   in Loop: Header=BB69_7 Depth=2
	s_andn2_saveexec_b64 s[10:11], s[10:11]
	s_cbranch_execz .LBB69_12
; %bb.11:                               ;   in Loop: Header=BB69_7 Depth=2
	v_lshl_add_u64 v[20:21], v[8:9], 4, v[10:11]
	global_load_dwordx4 v[20:23], v[20:21], off
	s_waitcnt vmcnt(0)
	ds_write_b128 v7, v[20:23]
.LBB69_12:                              ;   in Loop: Header=BB69_7 Depth=2
	s_or_b64 exec, exec, s[10:11]
	v_cmp_le_u32_e64 s[10:11], s17, v14
	s_and_saveexec_b64 s[28:29], s[10:11]
	s_xor_b64 s[10:11], exec, s[28:29]
	s_cbranch_execnz .LBB69_27
; %bb.13:                               ;   in Loop: Header=BB69_7 Depth=2
	s_andn2_saveexec_b64 s[10:11], s[10:11]
	s_cbranch_execnz .LBB69_28
.LBB69_14:                              ;   in Loop: Header=BB69_7 Depth=2
	s_or_b64 exec, exec, s[10:11]
	s_and_b64 exec, exec, s[8:9]
	s_cbranch_execz .LBB69_16
.LBB69_15:                              ;   in Loop: Header=BB69_7 Depth=2
	ds_read_b128 v[20:23], v16
	s_waitcnt lgkmcnt(0)
	v_mul_f64 v[26:27], v[4:5], v[22:23]
	v_mul_f64 v[24:25], v[2:3], v[22:23]
	v_fma_f64 v[22:23], v[2:3], v[20:21], -v[26:27]
	v_fmac_f64_e32 v[24:25], v[4:5], v[20:21]
	ds_write_b128 v16, v[22:25]
.LBB69_16:                              ;   in Loop: Header=BB69_7 Depth=2
	s_or_b64 exec, exec, s[26:27]
	s_mov_b64 s[26:27], 0
	v_mov_b32_e32 v3, 0
	s_waitcnt lgkmcnt(0)
	s_barrier
	s_branch .LBB69_18
.LBB69_17:                              ;   in Loop: Header=BB69_18 Depth=3
	s_or_b64 exec, exec, s[10:11]
	v_cmp_eq_u32_e64 s[10:11], s31, v3
	s_or_b64 s[26:27], s[10:11], s[26:27]
	s_waitcnt lgkmcnt(0)
	s_barrier
	s_andn2_b64 exec, exec, s[26:27]
	s_cbranch_execz .LBB69_22
.LBB69_18:                              ;   Parent Loop BB69_4 Depth=1
                                        ;     Parent Loop BB69_7 Depth=2
                                        ; =>    This Inner Loop Header: Depth=3
	v_add_u32_e32 v2, 1, v3
	s_and_saveexec_b64 s[10:11], s[6:7]
	s_xor_b64 s[10:11], exec, s[10:11]
; %bb.19:                               ;   in Loop: Header=BB69_18 Depth=3
	v_add_u32_e32 v3, 1, v3
                                        ; implicit-def: $vgpr2
; %bb.20:                               ;   in Loop: Header=BB69_18 Depth=3
	s_andn2_saveexec_b64 s[10:11], s[10:11]
	s_cbranch_execz .LBB69_17
; %bb.21:                               ;   in Loop: Header=BB69_18 Depth=3
	v_lshlrev_b32_e64 v4, v3, 1
	v_lshrrev_b32_e32 v5, v3, v1
	v_lshl_or_b32 v4, v5, v2, v4
	v_bfm_b32 v3, v3, 0
	v_and_b32_e32 v3, v3, v1
	v_lshl_add_u32 v4, v4, 4, v16
	v_lshl_add_u32 v3, v3, 4, v4
	v_add_u32_e32 v4, -16, v4
	ds_read_b128 v[20:23], v3
	ds_read_b128 v[24:27], v4
	s_waitcnt lgkmcnt(0)
	v_mul_f64 v[4:5], v[22:23], v[26:27]
	v_mul_f64 v[30:31], v[20:21], v[26:27]
	v_fma_f64 v[28:29], v[20:21], v[24:25], -v[4:5]
	v_fmac_f64_e32 v[30:31], v[22:23], v[24:25]
	ds_write_b128 v3, v[28:31]
	v_mov_b32_e32 v3, v2
	s_branch .LBB69_17
.LBB69_22:                              ;   in Loop: Header=BB69_7 Depth=2
	s_or_b64 exec, exec, s[26:27]
	s_and_saveexec_b64 s[26:27], vcc
	s_cbranch_execz .LBB69_6
; %bb.23:                               ;   in Loop: Header=BB69_7 Depth=2
	v_cmp_gt_u32_e64 s[10:11], s17, v8
	s_and_saveexec_b64 s[28:29], s[10:11]
	s_cbranch_execz .LBB69_25
; %bb.24:                               ;   in Loop: Header=BB69_7 Depth=2
	ds_read_b128 v[2:5], v7
	v_lshl_add_u64 v[20:21], v[8:9], 4, v[12:13]
	s_waitcnt lgkmcnt(0)
	global_store_dwordx4 v[20:21], v[2:5], off
.LBB69_25:                              ;   in Loop: Header=BB69_7 Depth=2
	s_or_b64 exec, exec, s[28:29]
	v_cmp_gt_u32_e64 s[10:11], s17, v14
	s_and_b64 exec, exec, s[10:11]
	s_cbranch_execz .LBB69_6
; %bb.26:                               ;   in Loop: Header=BB69_7 Depth=2
	ds_read_b128 v[2:5], v17
	v_mov_b32_e32 v15, v9
	v_lshl_add_u64 v[14:15], v[14:15], 4, v[12:13]
	s_waitcnt lgkmcnt(0)
	global_store_dwordx4 v[14:15], v[2:5], off
	s_branch .LBB69_6
.LBB69_27:                              ;   in Loop: Header=BB69_7 Depth=2
	v_mov_b32_e32 v20, s20
	v_mov_b32_e32 v21, s21
	v_mov_b32_e32 v22, s22
	v_mov_b32_e32 v23, s23
	ds_write_b128 v17, v[20:23]
	s_andn2_saveexec_b64 s[10:11], s[10:11]
	s_cbranch_execz .LBB69_14
.LBB69_28:                              ;   in Loop: Header=BB69_7 Depth=2
	v_mov_b32_e32 v15, v9
	v_lshl_add_u64 v[20:21], v[14:15], 4, v[10:11]
	global_load_dwordx4 v[20:23], v[20:21], off
	s_waitcnt vmcnt(0)
	ds_write_b128 v17, v[20:23]
	s_or_b64 exec, exec, s[10:11]
	s_and_b64 exec, exec, s[8:9]
	s_cbranch_execnz .LBB69_15
	s_branch .LBB69_16
.LBB69_29:
	s_mov_b64 s[4:5], 0
.LBB69_30:
	s_andn2_b64 vcc, exec, s[4:5]
	s_cbranch_vccnz .LBB69_61
; %bb.31:
	s_load_dword s3, s[0:1], 0x44
	s_add_u32 s4, s0, 56
	s_mov_b32 s25, 0
	s_addc_u32 s5, s1, 0
	v_mov_b64_e32 v[2:3], s[24:25]
	s_waitcnt lgkmcnt(0)
	s_lshr_b32 s0, s3, 16
	s_mul_hi_u32 s9, s0, s2
	s_mul_i32 s8, s0, s2
	v_cmp_ge_u64_e32 vcc, s[8:9], v[2:3]
	s_cbranch_vccnz .LBB69_61
; %bb.32:
	s_lshl_b32 s10, 1, s18
	s_load_dword s4, s[4:5], 0x0
	s_and_b32 s6, 0xffff, s0
	s_ashr_i32 s11, s10, 31
	s_cmp_lg_u32 s17, 0
	s_mov_b32 s26, s17
	v_and_b32_e32 v4, 0x3ff, v0
	s_cselect_b64 s[2:3], -1, 0
	s_lshl_b64 s[16:17], s[10:11], 1
	v_mov_b32_e32 v7, 0
	v_lshl_add_u32 v17, v4, 4, v16
	s_lshl_b32 s5, s16, 4
	v_cndmask_b32_e64 v0, 0, 1, s[2:3]
	s_mov_b32 s27, s25
	v_mov_b32_e32 v5, v7
	v_lshl_add_u32 v18, s10, 4, v17
	v_cmp_eq_u32_e64 s[0:1], 0, v4
	v_add3_u32 v19, v16, s5, -16
	s_waitcnt lgkmcnt(0)
	s_mul_i32 s33, s4, s6
	s_add_i32 s36, s18, 1
	v_cmp_ne_u32_e64 s[2:3], 1, v0
	s_branch .LBB69_34
.LBB69_33:                              ;   in Loop: Header=BB69_34 Depth=1
	s_add_u32 s8, s8, s33
	s_addc_u32 s9, s9, 0
	v_mov_b64_e32 v[0:1], s[24:25]
	v_cmp_ge_u64_e32 vcc, s[8:9], v[0:1]
	s_cbranch_vccnz .LBB69_61
.LBB69_34:                              ; =>This Loop Header: Depth=1
                                        ;     Child Loop BB69_37 Depth 2
                                        ;       Child Loop BB69_49 Depth 3
	s_and_b64 vcc, exec, s[2:3]
	s_cbranch_vccnz .LBB69_33
; %bb.35:                               ;   in Loop: Header=BB69_34 Depth=1
	v_lshl_add_u64 v[0:1], s[8:9], 0, v[6:7]
	v_mad_u64_u32 v[2:3], s[4:5], v0, s26, 0
	v_mov_b32_e32 v8, v3
	v_mad_u64_u32 v[8:9], s[4:5], v1, s26, v[8:9]
	v_mov_b32_e32 v3, v8
	v_lshlrev_b64 v[2:3], 4, v[2:3]
	v_lshl_add_u64 v[8:9], s[14:15], 0, v[2:3]
	v_lshl_add_u64 v[10:11], s[12:13], 0, v[2:3]
	v_cmp_gt_u64_e64 s[4:5], s[24:25], v[0:1]
	v_cmp_le_u64_e64 s[6:7], s[24:25], v[0:1]
	s_mov_b64 s[18:19], 0
	v_mov_b64_e32 v[0:1], s[20:21]
	v_mov_b64_e32 v[2:3], s[22:23]
	s_branch .LBB69_37
.LBB69_36:                              ;   in Loop: Header=BB69_37 Depth=2
	s_or_b64 exec, exec, s[28:29]
	ds_read_b128 v[0:3], v19
	s_add_u32 s18, s18, s16
	s_addc_u32 s19, s19, s17
	v_mov_b64_e32 v[12:13], s[26:27]
	v_cmp_ge_u64_e32 vcc, s[18:19], v[12:13]
	s_waitcnt lgkmcnt(0)
	s_barrier
	s_cbranch_vccnz .LBB69_33
.LBB69_37:                              ;   Parent Loop BB69_34 Depth=1
                                        ; =>  This Loop Header: Depth=2
                                        ;       Child Loop BB69_49 Depth 3
	v_lshl_add_u64 v[14:15], s[18:19], 0, v[4:5]
	v_lshl_add_u64 v[12:13], v[14:15], 0, s[10:11]
	s_and_saveexec_b64 s[28:29], s[4:5]
	s_cbranch_execz .LBB69_46
; %bb.38:                               ;   in Loop: Header=BB69_37 Depth=2
	v_cmp_le_u64_e32 vcc, s[26:27], v[14:15]
	s_and_saveexec_b64 s[30:31], vcc
	s_xor_b64 s[30:31], exec, s[30:31]
	s_cbranch_execz .LBB69_40
; %bb.39:                               ;   in Loop: Header=BB69_37 Depth=2
	v_mov_b32_e32 v20, s20
	v_mov_b32_e32 v21, s21
	;; [unrolled: 1-line block ×4, first 2 shown]
	ds_write_b128 v17, v[20:23]
.LBB69_40:                              ;   in Loop: Header=BB69_37 Depth=2
	s_andn2_saveexec_b64 s[30:31], s[30:31]
	s_cbranch_execz .LBB69_42
; %bb.41:                               ;   in Loop: Header=BB69_37 Depth=2
	v_lshl_add_u64 v[20:21], v[14:15], 4, v[8:9]
	global_load_dwordx4 v[20:23], v[20:21], off
	s_waitcnt vmcnt(0)
	ds_write_b128 v17, v[20:23]
.LBB69_42:                              ;   in Loop: Header=BB69_37 Depth=2
	s_or_b64 exec, exec, s[30:31]
	v_cmp_le_u64_e32 vcc, s[26:27], v[12:13]
	s_and_saveexec_b64 s[30:31], vcc
	s_xor_b64 s[30:31], exec, s[30:31]
	s_cbranch_execnz .LBB69_59
; %bb.43:                               ;   in Loop: Header=BB69_37 Depth=2
	s_andn2_saveexec_b64 s[30:31], s[30:31]
	s_cbranch_execnz .LBB69_60
.LBB69_44:                              ;   in Loop: Header=BB69_37 Depth=2
	s_or_b64 exec, exec, s[30:31]
	s_and_b64 exec, exec, s[0:1]
	s_cbranch_execz .LBB69_46
.LBB69_45:                              ;   in Loop: Header=BB69_37 Depth=2
	ds_read_b128 v[20:23], v16
	s_waitcnt lgkmcnt(0)
	v_mul_f64 v[26:27], v[2:3], v[22:23]
	v_mul_f64 v[24:25], v[0:1], v[22:23]
	v_fma_f64 v[22:23], v[0:1], v[20:21], -v[26:27]
	v_fmac_f64_e32 v[24:25], v[2:3], v[20:21]
	ds_write_b128 v16, v[22:25]
.LBB69_46:                              ;   in Loop: Header=BB69_37 Depth=2
	s_or_b64 exec, exec, s[28:29]
	s_mov_b64 s[28:29], 0
	v_mov_b32_e32 v21, 0
	s_waitcnt lgkmcnt(0)
	s_barrier
	s_branch .LBB69_49
.LBB69_47:                              ;   in Loop: Header=BB69_49 Depth=3
	s_or_b64 exec, exec, s[34:35]
	v_lshrrev_b32_e32 v1, v21, v4
	v_lshl_or_b32 v0, v1, v20, v0
	v_lshl_add_u32 v0, v0, 4, v16
	v_lshl_add_u32 v21, v2, 4, v0
	v_add_u32_e32 v22, -16, v0
	ds_read_b128 v[0:3], v21
	ds_read_b128 v[22:25], v22
	s_waitcnt lgkmcnt(0)
	v_mul_f64 v[28:29], v[2:3], v[24:25]
	v_mul_f64 v[26:27], v[0:1], v[24:25]
	v_fma_f64 v[24:25], v[0:1], v[22:23], -v[28:29]
	v_fmac_f64_e32 v[26:27], v[2:3], v[22:23]
	ds_write_b128 v21, v[24:27]
.LBB69_48:                              ;   in Loop: Header=BB69_49 Depth=3
	s_or_b64 exec, exec, s[30:31]
	v_cmp_eq_u32_e32 vcc, s36, v20
	s_or_b64 s[28:29], vcc, s[28:29]
	v_mov_b32_e32 v21, v20
	s_waitcnt lgkmcnt(0)
	s_barrier
	s_andn2_b64 exec, exec, s[28:29]
	s_cbranch_execz .LBB69_54
.LBB69_49:                              ;   Parent Loop BB69_34 Depth=1
                                        ;     Parent Loop BB69_37 Depth=2
                                        ; =>    This Inner Loop Header: Depth=3
	v_add_u32_e32 v20, 1, v21
	s_and_saveexec_b64 s[30:31], s[6:7]
	s_xor_b64 s[30:31], exec, s[30:31]
; %bb.50:                               ;   in Loop: Header=BB69_49 Depth=3
	v_add_u32_e32 v20, 1, v21
                                        ; implicit-def: $vgpr21
; %bb.51:                               ;   in Loop: Header=BB69_49 Depth=3
	s_andn2_saveexec_b64 s[30:31], s[30:31]
	s_cbranch_execz .LBB69_48
; %bb.52:                               ;   in Loop: Header=BB69_49 Depth=3
	v_lshlrev_b32_e64 v0, v21, 1
	v_ashrrev_i32_e32 v1, 31, v0
	v_cmp_ge_u64_e32 vcc, v[4:5], v[0:1]
	v_mov_b64_e32 v[2:3], v[4:5]
	s_and_saveexec_b64 s[34:35], vcc
	s_cbranch_execz .LBB69_47
; %bb.53:                               ;   in Loop: Header=BB69_49 Depth=3
	v_cvt_f32_u32_e32 v1, v0
	v_sub_u32_e32 v2, 0, v0
	v_rcp_iflag_f32_e32 v1, v1
	s_nop 0
	v_mul_f32_e32 v1, 0x4f7ffffe, v1
	v_cvt_u32_f32_e32 v1, v1
	v_mul_lo_u32 v2, v2, v1
	v_mul_hi_u32 v2, v1, v2
	v_add_u32_e32 v1, v1, v2
	v_mul_hi_u32 v1, v4, v1
	v_mul_lo_u32 v1, v1, v0
	v_sub_u32_e32 v1, v4, v1
	v_sub_u32_e32 v2, v1, v0
	v_cmp_ge_u32_e32 vcc, v1, v0
	s_nop 1
	v_cndmask_b32_e32 v1, v1, v2, vcc
	v_sub_u32_e32 v2, v1, v0
	v_cmp_ge_u32_e32 vcc, v1, v0
	s_nop 1
	v_cndmask_b32_e32 v2, v1, v2, vcc
	s_branch .LBB69_47
.LBB69_54:                              ;   in Loop: Header=BB69_37 Depth=2
	s_or_b64 exec, exec, s[28:29]
	s_and_saveexec_b64 s[28:29], s[4:5]
	s_cbranch_execz .LBB69_36
; %bb.55:                               ;   in Loop: Header=BB69_37 Depth=2
	v_cmp_gt_u64_e32 vcc, s[26:27], v[14:15]
	s_and_saveexec_b64 s[30:31], vcc
	s_cbranch_execz .LBB69_57
; %bb.56:                               ;   in Loop: Header=BB69_37 Depth=2
	ds_read_b128 v[0:3], v17
	v_lshl_add_u64 v[14:15], v[14:15], 4, v[10:11]
	s_waitcnt lgkmcnt(0)
	global_store_dwordx4 v[14:15], v[0:3], off
.LBB69_57:                              ;   in Loop: Header=BB69_37 Depth=2
	s_or_b64 exec, exec, s[30:31]
	v_cmp_gt_u64_e32 vcc, s[26:27], v[12:13]
	s_and_b64 exec, exec, vcc
	s_cbranch_execz .LBB69_36
; %bb.58:                               ;   in Loop: Header=BB69_37 Depth=2
	ds_read_b128 v[0:3], v18
	v_lshl_add_u64 v[12:13], v[12:13], 4, v[10:11]
	s_waitcnt lgkmcnt(0)
	global_store_dwordx4 v[12:13], v[0:3], off
	s_branch .LBB69_36
.LBB69_59:                              ;   in Loop: Header=BB69_37 Depth=2
	v_mov_b32_e32 v20, s20
	v_mov_b32_e32 v21, s21
	;; [unrolled: 1-line block ×4, first 2 shown]
	ds_write_b128 v18, v[20:23]
	s_andn2_saveexec_b64 s[30:31], s[30:31]
	s_cbranch_execz .LBB69_44
.LBB69_60:                              ;   in Loop: Header=BB69_37 Depth=2
	v_lshl_add_u64 v[20:21], v[12:13], 4, v[8:9]
	global_load_dwordx4 v[20:23], v[20:21], off
	s_waitcnt vmcnt(0)
	ds_write_b128 v18, v[20:23]
	s_or_b64 exec, exec, s[30:31]
	s_and_b64 exec, exec, s[0:1]
	s_cbranch_execnz .LBB69_45
	s_branch .LBB69_46
.LBB69_61:
	s_endpgm
	.section	.rodata,"a",@progbits
	.p2align	6, 0x0
	.amdhsa_kernel _ZN2at6native32tensor_kernel_scan_innermost_dimIN3c107complexIdEESt10multipliesIS4_EEEvPT_PKS7_jjjS7_T0_
		.amdhsa_group_segment_fixed_size 0
		.amdhsa_private_segment_fixed_size 0
		.amdhsa_kernarg_size 312
		.amdhsa_user_sgpr_count 2
		.amdhsa_user_sgpr_dispatch_ptr 0
		.amdhsa_user_sgpr_queue_ptr 0
		.amdhsa_user_sgpr_kernarg_segment_ptr 1
		.amdhsa_user_sgpr_dispatch_id 0
		.amdhsa_user_sgpr_kernarg_preload_length 0
		.amdhsa_user_sgpr_kernarg_preload_offset 0
		.amdhsa_user_sgpr_private_segment_size 0
		.amdhsa_uses_dynamic_stack 0
		.amdhsa_enable_private_segment 0
		.amdhsa_system_sgpr_workgroup_id_x 1
		.amdhsa_system_sgpr_workgroup_id_y 0
		.amdhsa_system_sgpr_workgroup_id_z 0
		.amdhsa_system_sgpr_workgroup_info 0
		.amdhsa_system_vgpr_workitem_id 1
		.amdhsa_next_free_vgpr 32
		.amdhsa_next_free_sgpr 37
		.amdhsa_accum_offset 32
		.amdhsa_reserve_vcc 1
		.amdhsa_float_round_mode_32 0
		.amdhsa_float_round_mode_16_64 0
		.amdhsa_float_denorm_mode_32 3
		.amdhsa_float_denorm_mode_16_64 3
		.amdhsa_dx10_clamp 1
		.amdhsa_ieee_mode 1
		.amdhsa_fp16_overflow 0
		.amdhsa_tg_split 0
		.amdhsa_exception_fp_ieee_invalid_op 0
		.amdhsa_exception_fp_denorm_src 0
		.amdhsa_exception_fp_ieee_div_zero 0
		.amdhsa_exception_fp_ieee_overflow 0
		.amdhsa_exception_fp_ieee_underflow 0
		.amdhsa_exception_fp_ieee_inexact 0
		.amdhsa_exception_int_div_zero 0
	.end_amdhsa_kernel
	.section	.text._ZN2at6native32tensor_kernel_scan_innermost_dimIN3c107complexIdEESt10multipliesIS4_EEEvPT_PKS7_jjjS7_T0_,"axG",@progbits,_ZN2at6native32tensor_kernel_scan_innermost_dimIN3c107complexIdEESt10multipliesIS4_EEEvPT_PKS7_jjjS7_T0_,comdat
.Lfunc_end69:
	.size	_ZN2at6native32tensor_kernel_scan_innermost_dimIN3c107complexIdEESt10multipliesIS4_EEEvPT_PKS7_jjjS7_T0_, .Lfunc_end69-_ZN2at6native32tensor_kernel_scan_innermost_dimIN3c107complexIdEESt10multipliesIS4_EEEvPT_PKS7_jjjS7_T0_
                                        ; -- End function
	.section	.AMDGPU.csdata,"",@progbits
; Kernel info:
; codeLenInByte = 1912
; NumSgprs: 43
; NumVgprs: 32
; NumAgprs: 0
; TotalNumVgprs: 32
; ScratchSize: 0
; MemoryBound: 0
; FloatMode: 240
; IeeeMode: 1
; LDSByteSize: 0 bytes/workgroup (compile time only)
; SGPRBlocks: 5
; VGPRBlocks: 3
; NumSGPRsForWavesPerEU: 43
; NumVGPRsForWavesPerEU: 32
; AccumOffset: 32
; Occupancy: 8
; WaveLimiterHint : 0
; COMPUTE_PGM_RSRC2:SCRATCH_EN: 0
; COMPUTE_PGM_RSRC2:USER_SGPR: 2
; COMPUTE_PGM_RSRC2:TRAP_HANDLER: 0
; COMPUTE_PGM_RSRC2:TGID_X_EN: 1
; COMPUTE_PGM_RSRC2:TGID_Y_EN: 0
; COMPUTE_PGM_RSRC2:TGID_Z_EN: 0
; COMPUTE_PGM_RSRC2:TIDIG_COMP_CNT: 1
; COMPUTE_PGM_RSRC3_GFX90A:ACCUM_OFFSET: 7
; COMPUTE_PGM_RSRC3_GFX90A:TG_SPLIT: 0
	.section	.text._ZN2at6native28tensor_kernel_scan_outer_dimIN3c107complexIdEEjSt10multipliesIS4_EEEvPT_PKS7_jjjS7_T1_,"axG",@progbits,_ZN2at6native28tensor_kernel_scan_outer_dimIN3c107complexIdEEjSt10multipliesIS4_EEEvPT_PKS7_jjjS7_T1_,comdat
	.protected	_ZN2at6native28tensor_kernel_scan_outer_dimIN3c107complexIdEEjSt10multipliesIS4_EEEvPT_PKS7_jjjS7_T1_ ; -- Begin function _ZN2at6native28tensor_kernel_scan_outer_dimIN3c107complexIdEEjSt10multipliesIS4_EEEvPT_PKS7_jjjS7_T1_
	.globl	_ZN2at6native28tensor_kernel_scan_outer_dimIN3c107complexIdEEjSt10multipliesIS4_EEEvPT_PKS7_jjjS7_T1_
	.p2align	8
	.type	_ZN2at6native28tensor_kernel_scan_outer_dimIN3c107complexIdEEjSt10multipliesIS4_EEEvPT_PKS7_jjjS7_T1_,@function
_ZN2at6native28tensor_kernel_scan_outer_dimIN3c107complexIdEEjSt10multipliesIS4_EEEvPT_PKS7_jjjS7_T1_: ; @_ZN2at6native28tensor_kernel_scan_outer_dimIN3c107complexIdEEjSt10multipliesIS4_EEEvPT_PKS7_jjjS7_T1_
; %bb.0:
	s_load_dwordx4 s[8:11], s[0:1], 0x10
	s_waitcnt lgkmcnt(0)
	s_cmp_ge_u32 s2, s8
	s_cbranch_scc1 .LBB70_9
; %bb.1:
	s_load_dword s11, s[0:1], 0x38
	s_load_dword s4, s[0:1], 0x44
	s_load_dwordx4 s[12:15], s[0:1], 0x0
	s_load_dwordx4 s[16:19], s[0:1], 0x20
	s_add_u32 s6, s0, 56
	s_addc_u32 s7, s1, 0
	s_waitcnt lgkmcnt(0)
	s_and_b32 s30, s4, 0xffff
	s_mul_i32 s3, s3, s30
	s_cmp_lg_u32 s10, 0
	v_add_u32_e32 v8, s3, v0
	s_mul_i32 s3, s2, s10
	s_cselect_b64 s[4:5], -1, 0
	s_mov_b32 s21, 0
	s_mov_b32 s20, s9
	s_mul_i32 s24, s3, s9
	s_mul_i32 s3, s11, s10
	v_cndmask_b32_e64 v0, 0, 1, s[4:5]
	v_cmp_gt_u32_e64 s[0:1], s9, v8
	s_mul_i32 s3, s3, s9
	s_lshl_b64 s[22:23], s[20:21], 4
	v_cmp_ne_u32_e64 s[4:5], 1, v0
	v_mov_b32_e32 v1, 0
	s_mov_b32 s20, s24
	s_branch .LBB70_3
.LBB70_2:                               ;   in Loop: Header=BB70_3 Depth=1
	s_or_b64 exec, exec, s[24:25]
	s_add_i32 s2, s11, s2
	s_add_i32 s20, s20, s3
	s_cmp_ge_u32 s2, s8
	s_cbranch_scc1 .LBB70_9
.LBB70_3:                               ; =>This Loop Header: Depth=1
                                        ;     Child Loop BB70_6 Depth 2
                                        ;       Child Loop BB70_8 Depth 3
	s_and_saveexec_b64 s[24:25], s[0:1]
	s_cbranch_execz .LBB70_2
; %bb.4:                                ;   in Loop: Header=BB70_3 Depth=1
	s_load_dword s31, s[6:7], 0x4
	s_lshl_b64 s[26:27], s[20:21], 4
	s_mov_b64 s[28:29], 0
	s_or_b32 s26, s26, 8
	v_mov_b32_e32 v0, v8
	s_waitcnt lgkmcnt(0)
	s_mul_i32 s31, s31, s30
	s_branch .LBB70_6
.LBB70_5:                               ;   in Loop: Header=BB70_6 Depth=2
	v_add_u32_e32 v0, s31, v0
	v_cmp_le_u32_e32 vcc, s9, v0
	s_or_b64 s[28:29], vcc, s[28:29]
	s_andn2_b64 exec, exec, s[28:29]
	s_cbranch_execz .LBB70_2
.LBB70_6:                               ;   Parent Loop BB70_3 Depth=1
                                        ; =>  This Loop Header: Depth=2
                                        ;       Child Loop BB70_8 Depth 3
	s_and_b64 vcc, exec, s[4:5]
	s_cbranch_vccnz .LBB70_5
; %bb.7:                                ;   in Loop: Header=BB70_6 Depth=2
	v_lshl_add_u64 v[2:3], v[0:1], 4, s[26:27]
	v_mov_b64_e32 v[4:5], s[18:19]
	v_mov_b64_e32 v[6:7], s[16:17]
	s_mov_b32 s33, s10
.LBB70_8:                               ;   Parent Loop BB70_3 Depth=1
                                        ;     Parent Loop BB70_6 Depth=2
                                        ; =>    This Inner Loop Header: Depth=3
	v_lshl_add_u64 v[10:11], s[14:15], 0, v[2:3]
	global_load_dwordx4 v[10:13], v[10:11], off offset:-8
	s_add_i32 s33, s33, -1
	v_lshl_add_u64 v[16:17], s[12:13], 0, v[2:3]
	v_lshl_add_u64 v[2:3], v[2:3], 0, s[22:23]
	s_cmp_eq_u32 s33, 0
	s_waitcnt vmcnt(0)
	v_mul_f64 v[18:19], v[4:5], v[12:13]
	v_mul_f64 v[14:15], v[6:7], v[12:13]
	v_fma_f64 v[12:13], v[6:7], v[10:11], -v[18:19]
	v_fmac_f64_e32 v[14:15], v[4:5], v[10:11]
	v_mov_b64_e32 v[4:5], v[14:15]
	v_mov_b64_e32 v[6:7], v[12:13]
	global_store_dwordx4 v[16:17], v[12:15], off offset:-8
	s_cbranch_scc0 .LBB70_8
	s_branch .LBB70_5
.LBB70_9:
	s_endpgm
	.section	.rodata,"a",@progbits
	.p2align	6, 0x0
	.amdhsa_kernel _ZN2at6native28tensor_kernel_scan_outer_dimIN3c107complexIdEEjSt10multipliesIS4_EEEvPT_PKS7_jjjS7_T1_
		.amdhsa_group_segment_fixed_size 0
		.amdhsa_private_segment_fixed_size 0
		.amdhsa_kernarg_size 312
		.amdhsa_user_sgpr_count 2
		.amdhsa_user_sgpr_dispatch_ptr 0
		.amdhsa_user_sgpr_queue_ptr 0
		.amdhsa_user_sgpr_kernarg_segment_ptr 1
		.amdhsa_user_sgpr_dispatch_id 0
		.amdhsa_user_sgpr_kernarg_preload_length 0
		.amdhsa_user_sgpr_kernarg_preload_offset 0
		.amdhsa_user_sgpr_private_segment_size 0
		.amdhsa_uses_dynamic_stack 0
		.amdhsa_enable_private_segment 0
		.amdhsa_system_sgpr_workgroup_id_x 1
		.amdhsa_system_sgpr_workgroup_id_y 1
		.amdhsa_system_sgpr_workgroup_id_z 0
		.amdhsa_system_sgpr_workgroup_info 0
		.amdhsa_system_vgpr_workitem_id 0
		.amdhsa_next_free_vgpr 20
		.amdhsa_next_free_sgpr 34
		.amdhsa_accum_offset 20
		.amdhsa_reserve_vcc 1
		.amdhsa_float_round_mode_32 0
		.amdhsa_float_round_mode_16_64 0
		.amdhsa_float_denorm_mode_32 3
		.amdhsa_float_denorm_mode_16_64 3
		.amdhsa_dx10_clamp 1
		.amdhsa_ieee_mode 1
		.amdhsa_fp16_overflow 0
		.amdhsa_tg_split 0
		.amdhsa_exception_fp_ieee_invalid_op 0
		.amdhsa_exception_fp_denorm_src 0
		.amdhsa_exception_fp_ieee_div_zero 0
		.amdhsa_exception_fp_ieee_overflow 0
		.amdhsa_exception_fp_ieee_underflow 0
		.amdhsa_exception_fp_ieee_inexact 0
		.amdhsa_exception_int_div_zero 0
	.end_amdhsa_kernel
	.section	.text._ZN2at6native28tensor_kernel_scan_outer_dimIN3c107complexIdEEjSt10multipliesIS4_EEEvPT_PKS7_jjjS7_T1_,"axG",@progbits,_ZN2at6native28tensor_kernel_scan_outer_dimIN3c107complexIdEEjSt10multipliesIS4_EEEvPT_PKS7_jjjS7_T1_,comdat
.Lfunc_end70:
	.size	_ZN2at6native28tensor_kernel_scan_outer_dimIN3c107complexIdEEjSt10multipliesIS4_EEEvPT_PKS7_jjjS7_T1_, .Lfunc_end70-_ZN2at6native28tensor_kernel_scan_outer_dimIN3c107complexIdEEjSt10multipliesIS4_EEEvPT_PKS7_jjjS7_T1_
                                        ; -- End function
	.section	.AMDGPU.csdata,"",@progbits
; Kernel info:
; codeLenInByte = 364
; NumSgprs: 40
; NumVgprs: 20
; NumAgprs: 0
; TotalNumVgprs: 20
; ScratchSize: 0
; MemoryBound: 0
; FloatMode: 240
; IeeeMode: 1
; LDSByteSize: 0 bytes/workgroup (compile time only)
; SGPRBlocks: 4
; VGPRBlocks: 2
; NumSGPRsForWavesPerEU: 40
; NumVGPRsForWavesPerEU: 20
; AccumOffset: 20
; Occupancy: 8
; WaveLimiterHint : 0
; COMPUTE_PGM_RSRC2:SCRATCH_EN: 0
; COMPUTE_PGM_RSRC2:USER_SGPR: 2
; COMPUTE_PGM_RSRC2:TRAP_HANDLER: 0
; COMPUTE_PGM_RSRC2:TGID_X_EN: 1
; COMPUTE_PGM_RSRC2:TGID_Y_EN: 1
; COMPUTE_PGM_RSRC2:TGID_Z_EN: 0
; COMPUTE_PGM_RSRC2:TIDIG_COMP_CNT: 0
; COMPUTE_PGM_RSRC3_GFX90A:ACCUM_OFFSET: 4
; COMPUTE_PGM_RSRC3_GFX90A:TG_SPLIT: 0
	.section	.text._ZN2at6native28tensor_kernel_scan_outer_dimIN3c107complexIdEEmSt10multipliesIS4_EEEvPT_PKS7_jjjS7_T1_,"axG",@progbits,_ZN2at6native28tensor_kernel_scan_outer_dimIN3c107complexIdEEmSt10multipliesIS4_EEEvPT_PKS7_jjjS7_T1_,comdat
	.protected	_ZN2at6native28tensor_kernel_scan_outer_dimIN3c107complexIdEEmSt10multipliesIS4_EEEvPT_PKS7_jjjS7_T1_ ; -- Begin function _ZN2at6native28tensor_kernel_scan_outer_dimIN3c107complexIdEEmSt10multipliesIS4_EEEvPT_PKS7_jjjS7_T1_
	.globl	_ZN2at6native28tensor_kernel_scan_outer_dimIN3c107complexIdEEmSt10multipliesIS4_EEEvPT_PKS7_jjjS7_T1_
	.p2align	8
	.type	_ZN2at6native28tensor_kernel_scan_outer_dimIN3c107complexIdEEmSt10multipliesIS4_EEEvPT_PKS7_jjjS7_T1_,@function
_ZN2at6native28tensor_kernel_scan_outer_dimIN3c107complexIdEEmSt10multipliesIS4_EEEvPT_PKS7_jjjS7_T1_: ; @_ZN2at6native28tensor_kernel_scan_outer_dimIN3c107complexIdEEmSt10multipliesIS4_EEEvPT_PKS7_jjjS7_T1_
; %bb.0:
	s_load_dwordx4 s[8:11], s[0:1], 0x10
	s_waitcnt lgkmcnt(0)
	s_cmp_ge_u32 s2, s8
	s_cbranch_scc1 .LBB71_9
; %bb.1:
	s_load_dword s11, s[0:1], 0x38
	s_load_dword s4, s[0:1], 0x44
	s_load_dwordx4 s[12:15], s[0:1], 0x0
	s_load_dwordx4 s[16:19], s[0:1], 0x20
	s_add_u32 s6, s0, 56
	s_addc_u32 s7, s1, 0
	s_waitcnt lgkmcnt(0)
	s_and_b32 s30, s4, 0xffff
	s_cmp_lg_u32 s10, 0
	s_mul_i32 s3, s3, s30
	s_cselect_b64 s[24:25], -1, 0
	v_add_u32_e32 v8, s3, v0
	s_mov_b32 s5, 0
	s_mov_b32 s4, s9
	s_mul_hi_u32 s21, s10, s9
	s_mul_i32 s20, s10, s9
	v_cndmask_b32_e64 v0, 0, 1, s[24:25]
	v_cmp_gt_u32_e64 s[0:1], s9, v8
	s_lshl_b64 s[20:21], s[20:21], 4
	s_lshl_b64 s[22:23], s[4:5], 4
	v_cmp_ne_u32_e64 s[4:5], 1, v0
	v_mov_b32_e32 v1, 0
	s_branch .LBB71_3
.LBB71_2:                               ;   in Loop: Header=BB71_3 Depth=1
	s_or_b64 exec, exec, s[24:25]
	s_add_i32 s2, s2, s11
	s_cmp_ge_u32 s2, s8
	s_cbranch_scc1 .LBB71_9
.LBB71_3:                               ; =>This Loop Header: Depth=1
                                        ;     Child Loop BB71_6 Depth 2
                                        ;       Child Loop BB71_8 Depth 3
	s_and_saveexec_b64 s[24:25], s[0:1]
	s_cbranch_execz .LBB71_2
; %bb.4:                                ;   in Loop: Header=BB71_3 Depth=1
	s_load_dword s3, s[6:7], 0x4
	s_mul_i32 s26, s21, s2
	s_mul_hi_u32 s27, s20, s2
	s_mul_i32 s28, s20, s2
	s_add_i32 s27, s27, s26
	s_add_u32 s26, s28, 8
	s_waitcnt lgkmcnt(0)
	s_mul_i32 s3, s3, s30
	s_addc_u32 s27, s27, 0
	s_mov_b64 s[28:29], 0
	v_mov_b32_e32 v0, v8
	s_branch .LBB71_6
.LBB71_5:                               ;   in Loop: Header=BB71_6 Depth=2
	v_add_u32_e32 v0, s3, v0
	v_cmp_le_u32_e32 vcc, s9, v0
	s_or_b64 s[28:29], vcc, s[28:29]
	s_andn2_b64 exec, exec, s[28:29]
	s_cbranch_execz .LBB71_2
.LBB71_6:                               ;   Parent Loop BB71_3 Depth=1
                                        ; =>  This Loop Header: Depth=2
                                        ;       Child Loop BB71_8 Depth 3
	s_and_b64 vcc, exec, s[4:5]
	s_cbranch_vccnz .LBB71_5
; %bb.7:                                ;   in Loop: Header=BB71_6 Depth=2
	v_lshl_add_u64 v[2:3], v[0:1], 4, s[26:27]
	v_mov_b64_e32 v[4:5], s[18:19]
	v_mov_b64_e32 v[6:7], s[16:17]
	s_mov_b32 s31, s10
.LBB71_8:                               ;   Parent Loop BB71_3 Depth=1
                                        ;     Parent Loop BB71_6 Depth=2
                                        ; =>    This Inner Loop Header: Depth=3
	v_lshl_add_u64 v[10:11], s[14:15], 0, v[2:3]
	global_load_dwordx4 v[10:13], v[10:11], off offset:-8
	s_add_i32 s31, s31, -1
	v_lshl_add_u64 v[16:17], s[12:13], 0, v[2:3]
	v_lshl_add_u64 v[2:3], v[2:3], 0, s[22:23]
	s_cmp_eq_u32 s31, 0
	s_waitcnt vmcnt(0)
	v_mul_f64 v[18:19], v[4:5], v[12:13]
	v_mul_f64 v[14:15], v[6:7], v[12:13]
	v_fma_f64 v[12:13], v[6:7], v[10:11], -v[18:19]
	v_fmac_f64_e32 v[14:15], v[4:5], v[10:11]
	v_mov_b64_e32 v[4:5], v[14:15]
	v_mov_b64_e32 v[6:7], v[12:13]
	global_store_dwordx4 v[16:17], v[12:15], off offset:-8
	s_cbranch_scc0 .LBB71_8
	s_branch .LBB71_5
.LBB71_9:
	s_endpgm
	.section	.rodata,"a",@progbits
	.p2align	6, 0x0
	.amdhsa_kernel _ZN2at6native28tensor_kernel_scan_outer_dimIN3c107complexIdEEmSt10multipliesIS4_EEEvPT_PKS7_jjjS7_T1_
		.amdhsa_group_segment_fixed_size 0
		.amdhsa_private_segment_fixed_size 0
		.amdhsa_kernarg_size 312
		.amdhsa_user_sgpr_count 2
		.amdhsa_user_sgpr_dispatch_ptr 0
		.amdhsa_user_sgpr_queue_ptr 0
		.amdhsa_user_sgpr_kernarg_segment_ptr 1
		.amdhsa_user_sgpr_dispatch_id 0
		.amdhsa_user_sgpr_kernarg_preload_length 0
		.amdhsa_user_sgpr_kernarg_preload_offset 0
		.amdhsa_user_sgpr_private_segment_size 0
		.amdhsa_uses_dynamic_stack 0
		.amdhsa_enable_private_segment 0
		.amdhsa_system_sgpr_workgroup_id_x 1
		.amdhsa_system_sgpr_workgroup_id_y 1
		.amdhsa_system_sgpr_workgroup_id_z 0
		.amdhsa_system_sgpr_workgroup_info 0
		.amdhsa_system_vgpr_workitem_id 0
		.amdhsa_next_free_vgpr 20
		.amdhsa_next_free_sgpr 32
		.amdhsa_accum_offset 20
		.amdhsa_reserve_vcc 1
		.amdhsa_float_round_mode_32 0
		.amdhsa_float_round_mode_16_64 0
		.amdhsa_float_denorm_mode_32 3
		.amdhsa_float_denorm_mode_16_64 3
		.amdhsa_dx10_clamp 1
		.amdhsa_ieee_mode 1
		.amdhsa_fp16_overflow 0
		.amdhsa_tg_split 0
		.amdhsa_exception_fp_ieee_invalid_op 0
		.amdhsa_exception_fp_denorm_src 0
		.amdhsa_exception_fp_ieee_div_zero 0
		.amdhsa_exception_fp_ieee_overflow 0
		.amdhsa_exception_fp_ieee_underflow 0
		.amdhsa_exception_fp_ieee_inexact 0
		.amdhsa_exception_int_div_zero 0
	.end_amdhsa_kernel
	.section	.text._ZN2at6native28tensor_kernel_scan_outer_dimIN3c107complexIdEEmSt10multipliesIS4_EEEvPT_PKS7_jjjS7_T1_,"axG",@progbits,_ZN2at6native28tensor_kernel_scan_outer_dimIN3c107complexIdEEmSt10multipliesIS4_EEEvPT_PKS7_jjjS7_T1_,comdat
.Lfunc_end71:
	.size	_ZN2at6native28tensor_kernel_scan_outer_dimIN3c107complexIdEEmSt10multipliesIS4_EEEvPT_PKS7_jjjS7_T1_, .Lfunc_end71-_ZN2at6native28tensor_kernel_scan_outer_dimIN3c107complexIdEEmSt10multipliesIS4_EEEvPT_PKS7_jjjS7_T1_
                                        ; -- End function
	.section	.AMDGPU.csdata,"",@progbits
; Kernel info:
; codeLenInByte = 368
; NumSgprs: 38
; NumVgprs: 20
; NumAgprs: 0
; TotalNumVgprs: 20
; ScratchSize: 0
; MemoryBound: 0
; FloatMode: 240
; IeeeMode: 1
; LDSByteSize: 0 bytes/workgroup (compile time only)
; SGPRBlocks: 4
; VGPRBlocks: 2
; NumSGPRsForWavesPerEU: 38
; NumVGPRsForWavesPerEU: 20
; AccumOffset: 20
; Occupancy: 8
; WaveLimiterHint : 0
; COMPUTE_PGM_RSRC2:SCRATCH_EN: 0
; COMPUTE_PGM_RSRC2:USER_SGPR: 2
; COMPUTE_PGM_RSRC2:TRAP_HANDLER: 0
; COMPUTE_PGM_RSRC2:TGID_X_EN: 1
; COMPUTE_PGM_RSRC2:TGID_Y_EN: 1
; COMPUTE_PGM_RSRC2:TGID_Z_EN: 0
; COMPUTE_PGM_RSRC2:TIDIG_COMP_CNT: 0
; COMPUTE_PGM_RSRC3_GFX90A:ACCUM_OFFSET: 4
; COMPUTE_PGM_RSRC3_GFX90A:TG_SPLIT: 0
	.section	.text._ZN7rocprim17ROCPRIM_304000_NS6detail31init_lookback_scan_state_kernelINS1_19lookback_scan_stateIN3c107complexIfEELb1ELb1EEEEEvT_jjPNS8_10value_typeE,"axG",@progbits,_ZN7rocprim17ROCPRIM_304000_NS6detail31init_lookback_scan_state_kernelINS1_19lookback_scan_stateIN3c107complexIfEELb1ELb1EEEEEvT_jjPNS8_10value_typeE,comdat
	.protected	_ZN7rocprim17ROCPRIM_304000_NS6detail31init_lookback_scan_state_kernelINS1_19lookback_scan_stateIN3c107complexIfEELb1ELb1EEEEEvT_jjPNS8_10value_typeE ; -- Begin function _ZN7rocprim17ROCPRIM_304000_NS6detail31init_lookback_scan_state_kernelINS1_19lookback_scan_stateIN3c107complexIfEELb1ELb1EEEEEvT_jjPNS8_10value_typeE
	.globl	_ZN7rocprim17ROCPRIM_304000_NS6detail31init_lookback_scan_state_kernelINS1_19lookback_scan_stateIN3c107complexIfEELb1ELb1EEEEEvT_jjPNS8_10value_typeE
	.p2align	8
	.type	_ZN7rocprim17ROCPRIM_304000_NS6detail31init_lookback_scan_state_kernelINS1_19lookback_scan_stateIN3c107complexIfEELb1ELb1EEEEEvT_jjPNS8_10value_typeE,@function
_ZN7rocprim17ROCPRIM_304000_NS6detail31init_lookback_scan_state_kernelINS1_19lookback_scan_stateIN3c107complexIfEELb1ELb1EEEEEvT_jjPNS8_10value_typeE: ; @_ZN7rocprim17ROCPRIM_304000_NS6detail31init_lookback_scan_state_kernelINS1_19lookback_scan_stateIN3c107complexIfEELb1ELb1EEEEEvT_jjPNS8_10value_typeE
; %bb.0:
	s_load_dword s3, s[0:1], 0x24
	s_load_dwordx2 s[8:9], s[0:1], 0x10
	s_load_dwordx4 s[4:7], s[0:1], 0x0
	s_waitcnt lgkmcnt(0)
	s_and_b32 s0, s3, 0xffff
	s_mul_i32 s2, s2, s0
	s_cmp_eq_u64 s[8:9], 0
	v_add_u32_e32 v0, s2, v0
	s_cbranch_scc1 .LBB72_10
; %bb.1:
	s_cmp_lt_u32 s7, s6
	s_cselect_b32 s0, s7, 0
	s_mov_b32 s3, 0
	v_cmp_eq_u32_e32 vcc, s0, v0
	s_and_saveexec_b64 s[0:1], vcc
	s_cbranch_execz .LBB72_9
; %bb.2:
	s_add_i32 s2, s7, 64
	s_lshl_b64 s[2:3], s[2:3], 4
	s_add_u32 s12, s4, s2
	s_addc_u32 s13, s5, s3
	v_mov_b64_e32 v[2:3], s[12:13]
	;;#ASMSTART
	global_load_dwordx4 v[2:5], v[2:3] off sc1	
s_waitcnt vmcnt(0)
	;;#ASMEND
	v_mov_b32_e32 v7, 0
	v_and_b32_e32 v6, 0xff, v4
	v_mov_b32_e32 v8, v3
	s_mov_b64 s[10:11], 0
	v_cmp_eq_u64_e32 vcc, 0, v[6:7]
	s_and_saveexec_b64 s[2:3], vcc
	s_cbranch_execz .LBB72_8
; %bb.3:
	s_mov_b32 s7, 1
	v_mov_b64_e32 v[8:9], s[12:13]
.LBB72_4:                               ; =>This Loop Header: Depth=1
                                        ;     Child Loop BB72_5 Depth 2
	s_max_u32 s12, s7, 1
.LBB72_5:                               ;   Parent Loop BB72_4 Depth=1
                                        ; =>  This Inner Loop Header: Depth=2
	s_add_i32 s12, s12, -1
	s_cmp_eq_u32 s12, 0
	s_sleep 1
	s_cbranch_scc0 .LBB72_5
; %bb.6:                                ;   in Loop: Header=BB72_4 Depth=1
	s_cmp_lt_u32 s7, 32
	s_cselect_b64 s[12:13], -1, 0
	s_cmp_lg_u64 s[12:13], 0
	;;#ASMSTART
	global_load_dwordx4 v[2:5], v[8:9] off sc1	
s_waitcnt vmcnt(0)
	;;#ASMEND
	s_addc_u32 s7, s7, 0
	v_and_b32_e32 v6, 0xff, v4
	v_cmp_ne_u64_e32 vcc, 0, v[6:7]
	s_or_b64 s[10:11], vcc, s[10:11]
	s_andn2_b64 exec, exec, s[10:11]
	s_cbranch_execnz .LBB72_4
; %bb.7:
	s_or_b64 exec, exec, s[10:11]
	v_mov_b32_e32 v8, v3
.LBB72_8:
	s_or_b64 exec, exec, s[2:3]
	v_mov_b32_e32 v3, v8
	v_mov_b32_e32 v1, 0
	global_store_dwordx2 v1, v[2:3], s[8:9]
.LBB72_9:
	s_or_b64 exec, exec, s[0:1]
.LBB72_10:
	v_cmp_gt_u32_e32 vcc, s6, v0
	s_and_saveexec_b64 s[0:1], vcc
	s_cbranch_execnz .LBB72_13
; %bb.11:
	s_or_b64 exec, exec, s[0:1]
	v_cmp_gt_u32_e32 vcc, 64, v0
	s_and_saveexec_b64 s[0:1], vcc
	s_cbranch_execnz .LBB72_14
.LBB72_12:
	s_endpgm
.LBB72_13:
	v_add_u32_e32 v2, 64, v0
	v_mov_b32_e32 v3, 0
	v_lshl_add_u64 v[6:7], v[2:3], 4, s[4:5]
	v_mov_b32_e32 v2, v3
	v_mov_b32_e32 v4, v3
	;; [unrolled: 1-line block ×3, first 2 shown]
	global_store_dwordx4 v[6:7], v[2:5], off
	s_or_b64 exec, exec, s[0:1]
	v_cmp_gt_u32_e32 vcc, 64, v0
	s_and_saveexec_b64 s[0:1], vcc
	s_cbranch_execz .LBB72_12
.LBB72_14:
	v_mov_b32_e32 v1, 0
	v_lshl_add_u64 v[4:5], v[0:1], 4, s[4:5]
	v_mov_b32_e32 v2, 0xff
	v_mov_b32_e32 v0, v1
	;; [unrolled: 1-line block ×3, first 2 shown]
	global_store_dwordx4 v[4:5], v[0:3], off
	s_endpgm
	.section	.rodata,"a",@progbits
	.p2align	6, 0x0
	.amdhsa_kernel _ZN7rocprim17ROCPRIM_304000_NS6detail31init_lookback_scan_state_kernelINS1_19lookback_scan_stateIN3c107complexIfEELb1ELb1EEEEEvT_jjPNS8_10value_typeE
		.amdhsa_group_segment_fixed_size 0
		.amdhsa_private_segment_fixed_size 0
		.amdhsa_kernarg_size 280
		.amdhsa_user_sgpr_count 2
		.amdhsa_user_sgpr_dispatch_ptr 0
		.amdhsa_user_sgpr_queue_ptr 0
		.amdhsa_user_sgpr_kernarg_segment_ptr 1
		.amdhsa_user_sgpr_dispatch_id 0
		.amdhsa_user_sgpr_kernarg_preload_length 0
		.amdhsa_user_sgpr_kernarg_preload_offset 0
		.amdhsa_user_sgpr_private_segment_size 0
		.amdhsa_uses_dynamic_stack 0
		.amdhsa_enable_private_segment 0
		.amdhsa_system_sgpr_workgroup_id_x 1
		.amdhsa_system_sgpr_workgroup_id_y 0
		.amdhsa_system_sgpr_workgroup_id_z 0
		.amdhsa_system_sgpr_workgroup_info 0
		.amdhsa_system_vgpr_workitem_id 0
		.amdhsa_next_free_vgpr 10
		.amdhsa_next_free_sgpr 14
		.amdhsa_accum_offset 12
		.amdhsa_reserve_vcc 1
		.amdhsa_float_round_mode_32 0
		.amdhsa_float_round_mode_16_64 0
		.amdhsa_float_denorm_mode_32 3
		.amdhsa_float_denorm_mode_16_64 3
		.amdhsa_dx10_clamp 1
		.amdhsa_ieee_mode 1
		.amdhsa_fp16_overflow 0
		.amdhsa_tg_split 0
		.amdhsa_exception_fp_ieee_invalid_op 0
		.amdhsa_exception_fp_denorm_src 0
		.amdhsa_exception_fp_ieee_div_zero 0
		.amdhsa_exception_fp_ieee_overflow 0
		.amdhsa_exception_fp_ieee_underflow 0
		.amdhsa_exception_fp_ieee_inexact 0
		.amdhsa_exception_int_div_zero 0
	.end_amdhsa_kernel
	.section	.text._ZN7rocprim17ROCPRIM_304000_NS6detail31init_lookback_scan_state_kernelINS1_19lookback_scan_stateIN3c107complexIfEELb1ELb1EEEEEvT_jjPNS8_10value_typeE,"axG",@progbits,_ZN7rocprim17ROCPRIM_304000_NS6detail31init_lookback_scan_state_kernelINS1_19lookback_scan_stateIN3c107complexIfEELb1ELb1EEEEEvT_jjPNS8_10value_typeE,comdat
.Lfunc_end72:
	.size	_ZN7rocprim17ROCPRIM_304000_NS6detail31init_lookback_scan_state_kernelINS1_19lookback_scan_stateIN3c107complexIfEELb1ELb1EEEEEvT_jjPNS8_10value_typeE, .Lfunc_end72-_ZN7rocprim17ROCPRIM_304000_NS6detail31init_lookback_scan_state_kernelINS1_19lookback_scan_stateIN3c107complexIfEELb1ELb1EEEEEvT_jjPNS8_10value_typeE
                                        ; -- End function
	.section	.AMDGPU.csdata,"",@progbits
; Kernel info:
; codeLenInByte = 384
; NumSgprs: 20
; NumVgprs: 10
; NumAgprs: 0
; TotalNumVgprs: 10
; ScratchSize: 0
; MemoryBound: 0
; FloatMode: 240
; IeeeMode: 1
; LDSByteSize: 0 bytes/workgroup (compile time only)
; SGPRBlocks: 2
; VGPRBlocks: 1
; NumSGPRsForWavesPerEU: 20
; NumVGPRsForWavesPerEU: 10
; AccumOffset: 12
; Occupancy: 8
; WaveLimiterHint : 0
; COMPUTE_PGM_RSRC2:SCRATCH_EN: 0
; COMPUTE_PGM_RSRC2:USER_SGPR: 2
; COMPUTE_PGM_RSRC2:TRAP_HANDLER: 0
; COMPUTE_PGM_RSRC2:TGID_X_EN: 1
; COMPUTE_PGM_RSRC2:TGID_Y_EN: 0
; COMPUTE_PGM_RSRC2:TGID_Z_EN: 0
; COMPUTE_PGM_RSRC2:TIDIG_COMP_CNT: 0
; COMPUTE_PGM_RSRC3_GFX90A:ACCUM_OFFSET: 2
; COMPUTE_PGM_RSRC3_GFX90A:TG_SPLIT: 0
	.section	.text._ZN7rocprim17ROCPRIM_304000_NS6detail31init_lookback_scan_state_kernelINS1_19lookback_scan_stateIN3c107complexIfEELb0ELb1EEEEEvT_jjPNS8_10value_typeE,"axG",@progbits,_ZN7rocprim17ROCPRIM_304000_NS6detail31init_lookback_scan_state_kernelINS1_19lookback_scan_stateIN3c107complexIfEELb0ELb1EEEEEvT_jjPNS8_10value_typeE,comdat
	.protected	_ZN7rocprim17ROCPRIM_304000_NS6detail31init_lookback_scan_state_kernelINS1_19lookback_scan_stateIN3c107complexIfEELb0ELb1EEEEEvT_jjPNS8_10value_typeE ; -- Begin function _ZN7rocprim17ROCPRIM_304000_NS6detail31init_lookback_scan_state_kernelINS1_19lookback_scan_stateIN3c107complexIfEELb0ELb1EEEEEvT_jjPNS8_10value_typeE
	.globl	_ZN7rocprim17ROCPRIM_304000_NS6detail31init_lookback_scan_state_kernelINS1_19lookback_scan_stateIN3c107complexIfEELb0ELb1EEEEEvT_jjPNS8_10value_typeE
	.p2align	8
	.type	_ZN7rocprim17ROCPRIM_304000_NS6detail31init_lookback_scan_state_kernelINS1_19lookback_scan_stateIN3c107complexIfEELb0ELb1EEEEEvT_jjPNS8_10value_typeE,@function
_ZN7rocprim17ROCPRIM_304000_NS6detail31init_lookback_scan_state_kernelINS1_19lookback_scan_stateIN3c107complexIfEELb0ELb1EEEEEvT_jjPNS8_10value_typeE: ; @_ZN7rocprim17ROCPRIM_304000_NS6detail31init_lookback_scan_state_kernelINS1_19lookback_scan_stateIN3c107complexIfEELb0ELb1EEEEEvT_jjPNS8_10value_typeE
; %bb.0:
	s_load_dword s3, s[0:1], 0x24
	s_load_dwordx2 s[8:9], s[0:1], 0x10
	s_load_dwordx4 s[4:7], s[0:1], 0x0
	s_waitcnt lgkmcnt(0)
	s_and_b32 s0, s3, 0xffff
	s_mul_i32 s2, s2, s0
	s_cmp_eq_u64 s[8:9], 0
	v_add_u32_e32 v0, s2, v0
	s_cbranch_scc1 .LBB73_8
; %bb.1:
	s_cmp_lt_u32 s7, s6
	s_cselect_b32 s0, s7, 0
	s_mov_b32 s3, 0
	v_cmp_eq_u32_e32 vcc, s0, v0
	s_and_saveexec_b64 s[0:1], vcc
	s_cbranch_execz .LBB73_7
; %bb.2:
	s_add_i32 s2, s7, 64
	s_lshl_b64 s[2:3], s[2:3], 4
	s_add_u32 s12, s4, s2
	s_addc_u32 s13, s5, s3
	v_mov_b64_e32 v[2:3], s[12:13]
	;;#ASMSTART
	global_load_dwordx4 v[2:5], v[2:3] off sc1	
s_waitcnt vmcnt(0)
	;;#ASMEND
	v_mov_b32_e32 v7, 0
	v_and_b32_e32 v6, 0xff, v4
	v_mov_b32_e32 v8, v3
	s_mov_b64 s[10:11], 0
	v_cmp_eq_u64_e32 vcc, 0, v[6:7]
	s_and_saveexec_b64 s[2:3], vcc
	s_cbranch_execz .LBB73_6
; %bb.3:
	v_mov_b64_e32 v[8:9], s[12:13]
.LBB73_4:                               ; =>This Inner Loop Header: Depth=1
	;;#ASMSTART
	global_load_dwordx4 v[2:5], v[8:9] off sc1	
s_waitcnt vmcnt(0)
	;;#ASMEND
	s_nop 0
	v_and_b32_e32 v6, 0xff, v4
	v_cmp_ne_u64_e32 vcc, 0, v[6:7]
	s_or_b64 s[10:11], vcc, s[10:11]
	s_andn2_b64 exec, exec, s[10:11]
	s_cbranch_execnz .LBB73_4
; %bb.5:
	s_or_b64 exec, exec, s[10:11]
	v_mov_b32_e32 v8, v3
.LBB73_6:
	s_or_b64 exec, exec, s[2:3]
	v_mov_b32_e32 v3, v8
	v_mov_b32_e32 v1, 0
	global_store_dwordx2 v1, v[2:3], s[8:9]
.LBB73_7:
	s_or_b64 exec, exec, s[0:1]
.LBB73_8:
	v_cmp_gt_u32_e32 vcc, s6, v0
	s_and_saveexec_b64 s[0:1], vcc
	s_cbranch_execnz .LBB73_11
; %bb.9:
	s_or_b64 exec, exec, s[0:1]
	v_cmp_gt_u32_e32 vcc, 64, v0
	s_and_saveexec_b64 s[0:1], vcc
	s_cbranch_execnz .LBB73_12
.LBB73_10:
	s_endpgm
.LBB73_11:
	v_add_u32_e32 v2, 64, v0
	v_mov_b32_e32 v3, 0
	v_lshl_add_u64 v[6:7], v[2:3], 4, s[4:5]
	v_mov_b32_e32 v2, v3
	v_mov_b32_e32 v4, v3
	;; [unrolled: 1-line block ×3, first 2 shown]
	global_store_dwordx4 v[6:7], v[2:5], off
	s_or_b64 exec, exec, s[0:1]
	v_cmp_gt_u32_e32 vcc, 64, v0
	s_and_saveexec_b64 s[0:1], vcc
	s_cbranch_execz .LBB73_10
.LBB73_12:
	v_mov_b32_e32 v1, 0
	v_lshl_add_u64 v[4:5], v[0:1], 4, s[4:5]
	v_mov_b32_e32 v2, 0xff
	v_mov_b32_e32 v0, v1
	;; [unrolled: 1-line block ×3, first 2 shown]
	global_store_dwordx4 v[4:5], v[0:3], off
	s_endpgm
	.section	.rodata,"a",@progbits
	.p2align	6, 0x0
	.amdhsa_kernel _ZN7rocprim17ROCPRIM_304000_NS6detail31init_lookback_scan_state_kernelINS1_19lookback_scan_stateIN3c107complexIfEELb0ELb1EEEEEvT_jjPNS8_10value_typeE
		.amdhsa_group_segment_fixed_size 0
		.amdhsa_private_segment_fixed_size 0
		.amdhsa_kernarg_size 280
		.amdhsa_user_sgpr_count 2
		.amdhsa_user_sgpr_dispatch_ptr 0
		.amdhsa_user_sgpr_queue_ptr 0
		.amdhsa_user_sgpr_kernarg_segment_ptr 1
		.amdhsa_user_sgpr_dispatch_id 0
		.amdhsa_user_sgpr_kernarg_preload_length 0
		.amdhsa_user_sgpr_kernarg_preload_offset 0
		.amdhsa_user_sgpr_private_segment_size 0
		.amdhsa_uses_dynamic_stack 0
		.amdhsa_enable_private_segment 0
		.amdhsa_system_sgpr_workgroup_id_x 1
		.amdhsa_system_sgpr_workgroup_id_y 0
		.amdhsa_system_sgpr_workgroup_id_z 0
		.amdhsa_system_sgpr_workgroup_info 0
		.amdhsa_system_vgpr_workitem_id 0
		.amdhsa_next_free_vgpr 10
		.amdhsa_next_free_sgpr 14
		.amdhsa_accum_offset 12
		.amdhsa_reserve_vcc 1
		.amdhsa_float_round_mode_32 0
		.amdhsa_float_round_mode_16_64 0
		.amdhsa_float_denorm_mode_32 3
		.amdhsa_float_denorm_mode_16_64 3
		.amdhsa_dx10_clamp 1
		.amdhsa_ieee_mode 1
		.amdhsa_fp16_overflow 0
		.amdhsa_tg_split 0
		.amdhsa_exception_fp_ieee_invalid_op 0
		.amdhsa_exception_fp_denorm_src 0
		.amdhsa_exception_fp_ieee_div_zero 0
		.amdhsa_exception_fp_ieee_overflow 0
		.amdhsa_exception_fp_ieee_underflow 0
		.amdhsa_exception_fp_ieee_inexact 0
		.amdhsa_exception_int_div_zero 0
	.end_amdhsa_kernel
	.section	.text._ZN7rocprim17ROCPRIM_304000_NS6detail31init_lookback_scan_state_kernelINS1_19lookback_scan_stateIN3c107complexIfEELb0ELb1EEEEEvT_jjPNS8_10value_typeE,"axG",@progbits,_ZN7rocprim17ROCPRIM_304000_NS6detail31init_lookback_scan_state_kernelINS1_19lookback_scan_stateIN3c107complexIfEELb0ELb1EEEEEvT_jjPNS8_10value_typeE,comdat
.Lfunc_end73:
	.size	_ZN7rocprim17ROCPRIM_304000_NS6detail31init_lookback_scan_state_kernelINS1_19lookback_scan_stateIN3c107complexIfEELb0ELb1EEEEEvT_jjPNS8_10value_typeE, .Lfunc_end73-_ZN7rocprim17ROCPRIM_304000_NS6detail31init_lookback_scan_state_kernelINS1_19lookback_scan_stateIN3c107complexIfEELb0ELb1EEEEEvT_jjPNS8_10value_typeE
                                        ; -- End function
	.section	.AMDGPU.csdata,"",@progbits
; Kernel info:
; codeLenInByte = 348
; NumSgprs: 20
; NumVgprs: 10
; NumAgprs: 0
; TotalNumVgprs: 10
; ScratchSize: 0
; MemoryBound: 0
; FloatMode: 240
; IeeeMode: 1
; LDSByteSize: 0 bytes/workgroup (compile time only)
; SGPRBlocks: 2
; VGPRBlocks: 1
; NumSGPRsForWavesPerEU: 20
; NumVGPRsForWavesPerEU: 10
; AccumOffset: 12
; Occupancy: 8
; WaveLimiterHint : 0
; COMPUTE_PGM_RSRC2:SCRATCH_EN: 0
; COMPUTE_PGM_RSRC2:USER_SGPR: 2
; COMPUTE_PGM_RSRC2:TRAP_HANDLER: 0
; COMPUTE_PGM_RSRC2:TGID_X_EN: 1
; COMPUTE_PGM_RSRC2:TGID_Y_EN: 0
; COMPUTE_PGM_RSRC2:TGID_Z_EN: 0
; COMPUTE_PGM_RSRC2:TIDIG_COMP_CNT: 0
; COMPUTE_PGM_RSRC3_GFX90A:ACCUM_OFFSET: 2
; COMPUTE_PGM_RSRC3_GFX90A:TG_SPLIT: 0
	.section	.text._ZN7rocprim17ROCPRIM_304000_NS6detail20lookback_scan_kernelILNS1_25lookback_scan_determinismE0ELb0ENS1_19wrapped_scan_configINS0_14default_configEN3c107complexIfEEEEPKS8_PS8_St10multipliesIS8_ES8_S8_NS1_19lookback_scan_stateIS8_Lb1ELb1EEEEEvT2_T3_mT5_T4_T7_jPT6_SN_bb,"axG",@progbits,_ZN7rocprim17ROCPRIM_304000_NS6detail20lookback_scan_kernelILNS1_25lookback_scan_determinismE0ELb0ENS1_19wrapped_scan_configINS0_14default_configEN3c107complexIfEEEEPKS8_PS8_St10multipliesIS8_ES8_S8_NS1_19lookback_scan_stateIS8_Lb1ELb1EEEEEvT2_T3_mT5_T4_T7_jPT6_SN_bb,comdat
	.protected	_ZN7rocprim17ROCPRIM_304000_NS6detail20lookback_scan_kernelILNS1_25lookback_scan_determinismE0ELb0ENS1_19wrapped_scan_configINS0_14default_configEN3c107complexIfEEEEPKS8_PS8_St10multipliesIS8_ES8_S8_NS1_19lookback_scan_stateIS8_Lb1ELb1EEEEEvT2_T3_mT5_T4_T7_jPT6_SN_bb ; -- Begin function _ZN7rocprim17ROCPRIM_304000_NS6detail20lookback_scan_kernelILNS1_25lookback_scan_determinismE0ELb0ENS1_19wrapped_scan_configINS0_14default_configEN3c107complexIfEEEEPKS8_PS8_St10multipliesIS8_ES8_S8_NS1_19lookback_scan_stateIS8_Lb1ELb1EEEEEvT2_T3_mT5_T4_T7_jPT6_SN_bb
	.globl	_ZN7rocprim17ROCPRIM_304000_NS6detail20lookback_scan_kernelILNS1_25lookback_scan_determinismE0ELb0ENS1_19wrapped_scan_configINS0_14default_configEN3c107complexIfEEEEPKS8_PS8_St10multipliesIS8_ES8_S8_NS1_19lookback_scan_stateIS8_Lb1ELb1EEEEEvT2_T3_mT5_T4_T7_jPT6_SN_bb
	.p2align	8
	.type	_ZN7rocprim17ROCPRIM_304000_NS6detail20lookback_scan_kernelILNS1_25lookback_scan_determinismE0ELb0ENS1_19wrapped_scan_configINS0_14default_configEN3c107complexIfEEEEPKS8_PS8_St10multipliesIS8_ES8_S8_NS1_19lookback_scan_stateIS8_Lb1ELb1EEEEEvT2_T3_mT5_T4_T7_jPT6_SN_bb,@function
_ZN7rocprim17ROCPRIM_304000_NS6detail20lookback_scan_kernelILNS1_25lookback_scan_determinismE0ELb0ENS1_19wrapped_scan_configINS0_14default_configEN3c107complexIfEEEEPKS8_PS8_St10multipliesIS8_ES8_S8_NS1_19lookback_scan_stateIS8_Lb1ELb1EEEEEvT2_T3_mT5_T4_T7_jPT6_SN_bb: ; @_ZN7rocprim17ROCPRIM_304000_NS6detail20lookback_scan_kernelILNS1_25lookback_scan_determinismE0ELb0ENS1_19wrapped_scan_configINS0_14default_configEN3c107complexIfEEEEPKS8_PS8_St10multipliesIS8_ES8_S8_NS1_19lookback_scan_stateIS8_Lb1ELb1EEEEEvT2_T3_mT5_T4_T7_jPT6_SN_bb
; %bb.0:
	s_endpgm
	.section	.rodata,"a",@progbits
	.p2align	6, 0x0
	.amdhsa_kernel _ZN7rocprim17ROCPRIM_304000_NS6detail20lookback_scan_kernelILNS1_25lookback_scan_determinismE0ELb0ENS1_19wrapped_scan_configINS0_14default_configEN3c107complexIfEEEEPKS8_PS8_St10multipliesIS8_ES8_S8_NS1_19lookback_scan_stateIS8_Lb1ELb1EEEEEvT2_T3_mT5_T4_T7_jPT6_SN_bb
		.amdhsa_group_segment_fixed_size 0
		.amdhsa_private_segment_fixed_size 0
		.amdhsa_kernarg_size 76
		.amdhsa_user_sgpr_count 2
		.amdhsa_user_sgpr_dispatch_ptr 0
		.amdhsa_user_sgpr_queue_ptr 0
		.amdhsa_user_sgpr_kernarg_segment_ptr 1
		.amdhsa_user_sgpr_dispatch_id 0
		.amdhsa_user_sgpr_kernarg_preload_length 0
		.amdhsa_user_sgpr_kernarg_preload_offset 0
		.amdhsa_user_sgpr_private_segment_size 0
		.amdhsa_uses_dynamic_stack 0
		.amdhsa_enable_private_segment 0
		.amdhsa_system_sgpr_workgroup_id_x 1
		.amdhsa_system_sgpr_workgroup_id_y 0
		.amdhsa_system_sgpr_workgroup_id_z 0
		.amdhsa_system_sgpr_workgroup_info 0
		.amdhsa_system_vgpr_workitem_id 0
		.amdhsa_next_free_vgpr 1
		.amdhsa_next_free_sgpr 0
		.amdhsa_accum_offset 4
		.amdhsa_reserve_vcc 0
		.amdhsa_float_round_mode_32 0
		.amdhsa_float_round_mode_16_64 0
		.amdhsa_float_denorm_mode_32 3
		.amdhsa_float_denorm_mode_16_64 3
		.amdhsa_dx10_clamp 1
		.amdhsa_ieee_mode 1
		.amdhsa_fp16_overflow 0
		.amdhsa_tg_split 0
		.amdhsa_exception_fp_ieee_invalid_op 0
		.amdhsa_exception_fp_denorm_src 0
		.amdhsa_exception_fp_ieee_div_zero 0
		.amdhsa_exception_fp_ieee_overflow 0
		.amdhsa_exception_fp_ieee_underflow 0
		.amdhsa_exception_fp_ieee_inexact 0
		.amdhsa_exception_int_div_zero 0
	.end_amdhsa_kernel
	.section	.text._ZN7rocprim17ROCPRIM_304000_NS6detail20lookback_scan_kernelILNS1_25lookback_scan_determinismE0ELb0ENS1_19wrapped_scan_configINS0_14default_configEN3c107complexIfEEEEPKS8_PS8_St10multipliesIS8_ES8_S8_NS1_19lookback_scan_stateIS8_Lb1ELb1EEEEEvT2_T3_mT5_T4_T7_jPT6_SN_bb,"axG",@progbits,_ZN7rocprim17ROCPRIM_304000_NS6detail20lookback_scan_kernelILNS1_25lookback_scan_determinismE0ELb0ENS1_19wrapped_scan_configINS0_14default_configEN3c107complexIfEEEEPKS8_PS8_St10multipliesIS8_ES8_S8_NS1_19lookback_scan_stateIS8_Lb1ELb1EEEEEvT2_T3_mT5_T4_T7_jPT6_SN_bb,comdat
.Lfunc_end74:
	.size	_ZN7rocprim17ROCPRIM_304000_NS6detail20lookback_scan_kernelILNS1_25lookback_scan_determinismE0ELb0ENS1_19wrapped_scan_configINS0_14default_configEN3c107complexIfEEEEPKS8_PS8_St10multipliesIS8_ES8_S8_NS1_19lookback_scan_stateIS8_Lb1ELb1EEEEEvT2_T3_mT5_T4_T7_jPT6_SN_bb, .Lfunc_end74-_ZN7rocprim17ROCPRIM_304000_NS6detail20lookback_scan_kernelILNS1_25lookback_scan_determinismE0ELb0ENS1_19wrapped_scan_configINS0_14default_configEN3c107complexIfEEEEPKS8_PS8_St10multipliesIS8_ES8_S8_NS1_19lookback_scan_stateIS8_Lb1ELb1EEEEEvT2_T3_mT5_T4_T7_jPT6_SN_bb
                                        ; -- End function
	.section	.AMDGPU.csdata,"",@progbits
; Kernel info:
; codeLenInByte = 4
; NumSgprs: 6
; NumVgprs: 0
; NumAgprs: 0
; TotalNumVgprs: 0
; ScratchSize: 0
; MemoryBound: 0
; FloatMode: 240
; IeeeMode: 1
; LDSByteSize: 0 bytes/workgroup (compile time only)
; SGPRBlocks: 0
; VGPRBlocks: 0
; NumSGPRsForWavesPerEU: 6
; NumVGPRsForWavesPerEU: 1
; AccumOffset: 4
; Occupancy: 8
; WaveLimiterHint : 0
; COMPUTE_PGM_RSRC2:SCRATCH_EN: 0
; COMPUTE_PGM_RSRC2:USER_SGPR: 2
; COMPUTE_PGM_RSRC2:TRAP_HANDLER: 0
; COMPUTE_PGM_RSRC2:TGID_X_EN: 1
; COMPUTE_PGM_RSRC2:TGID_Y_EN: 0
; COMPUTE_PGM_RSRC2:TGID_Z_EN: 0
; COMPUTE_PGM_RSRC2:TIDIG_COMP_CNT: 0
; COMPUTE_PGM_RSRC3_GFX90A:ACCUM_OFFSET: 0
; COMPUTE_PGM_RSRC3_GFX90A:TG_SPLIT: 0
	.section	.text._ZN7rocprim17ROCPRIM_304000_NS6detail20lookback_scan_kernelILNS1_25lookback_scan_determinismE0ELb0ENS1_19wrapped_scan_configINS0_14default_configEN3c107complexIfEEEEPKS8_PS8_St10multipliesIS8_ES8_S8_NS1_19lookback_scan_stateIS8_Lb0ELb1EEEEEvT2_T3_mT5_T4_T7_jPT6_SN_bb,"axG",@progbits,_ZN7rocprim17ROCPRIM_304000_NS6detail20lookback_scan_kernelILNS1_25lookback_scan_determinismE0ELb0ENS1_19wrapped_scan_configINS0_14default_configEN3c107complexIfEEEEPKS8_PS8_St10multipliesIS8_ES8_S8_NS1_19lookback_scan_stateIS8_Lb0ELb1EEEEEvT2_T3_mT5_T4_T7_jPT6_SN_bb,comdat
	.protected	_ZN7rocprim17ROCPRIM_304000_NS6detail20lookback_scan_kernelILNS1_25lookback_scan_determinismE0ELb0ENS1_19wrapped_scan_configINS0_14default_configEN3c107complexIfEEEEPKS8_PS8_St10multipliesIS8_ES8_S8_NS1_19lookback_scan_stateIS8_Lb0ELb1EEEEEvT2_T3_mT5_T4_T7_jPT6_SN_bb ; -- Begin function _ZN7rocprim17ROCPRIM_304000_NS6detail20lookback_scan_kernelILNS1_25lookback_scan_determinismE0ELb0ENS1_19wrapped_scan_configINS0_14default_configEN3c107complexIfEEEEPKS8_PS8_St10multipliesIS8_ES8_S8_NS1_19lookback_scan_stateIS8_Lb0ELb1EEEEEvT2_T3_mT5_T4_T7_jPT6_SN_bb
	.globl	_ZN7rocprim17ROCPRIM_304000_NS6detail20lookback_scan_kernelILNS1_25lookback_scan_determinismE0ELb0ENS1_19wrapped_scan_configINS0_14default_configEN3c107complexIfEEEEPKS8_PS8_St10multipliesIS8_ES8_S8_NS1_19lookback_scan_stateIS8_Lb0ELb1EEEEEvT2_T3_mT5_T4_T7_jPT6_SN_bb
	.p2align	8
	.type	_ZN7rocprim17ROCPRIM_304000_NS6detail20lookback_scan_kernelILNS1_25lookback_scan_determinismE0ELb0ENS1_19wrapped_scan_configINS0_14default_configEN3c107complexIfEEEEPKS8_PS8_St10multipliesIS8_ES8_S8_NS1_19lookback_scan_stateIS8_Lb0ELb1EEEEEvT2_T3_mT5_T4_T7_jPT6_SN_bb,@function
_ZN7rocprim17ROCPRIM_304000_NS6detail20lookback_scan_kernelILNS1_25lookback_scan_determinismE0ELb0ENS1_19wrapped_scan_configINS0_14default_configEN3c107complexIfEEEEPKS8_PS8_St10multipliesIS8_ES8_S8_NS1_19lookback_scan_stateIS8_Lb0ELb1EEEEEvT2_T3_mT5_T4_T7_jPT6_SN_bb: ; @_ZN7rocprim17ROCPRIM_304000_NS6detail20lookback_scan_kernelILNS1_25lookback_scan_determinismE0ELb0ENS1_19wrapped_scan_configINS0_14default_configEN3c107complexIfEEEEPKS8_PS8_St10multipliesIS8_ES8_S8_NS1_19lookback_scan_stateIS8_Lb0ELb1EEEEEvT2_T3_mT5_T4_T7_jPT6_SN_bb
; %bb.0:
	s_load_dword s3, s[0:1], 0x30
	s_load_dwordx4 s[8:11], s[0:1], 0x0
	s_load_dwordx2 s[4:5], s[0:1], 0x10
	s_mov_b32 s7, 0
	s_mul_i32 s6, s2, 0xf00
	s_waitcnt lgkmcnt(0)
	s_add_i32 s3, s3, -1
	s_mul_i32 s12, s3, 0xf00
	s_sub_u32 s22, s4, s12
	s_subb_u32 s23, s5, 0
	s_cmp_lg_u32 s2, s3
	s_cselect_b64 s[12:13], -1, 0
	s_lshl_b64 s[14:15], s[6:7], 3
	s_add_u32 s8, s8, s14
	s_addc_u32 s9, s9, s15
	s_mov_b64 s[4:5], -1
	s_and_b64 vcc, exec, s[12:13]
	v_lshlrev_b32_e32 v38, 3, v0
	s_cbranch_vccz .LBB75_2
; %bb.1:
	v_mov_b32_e32 v39, 0
	v_lshl_add_u64 v[2:3], s[8:9], 0, v[38:39]
	v_add_co_u32_e32 v8, vcc, 0x1000, v2
	global_load_dwordx2 v[4:5], v38, s[8:9]
	global_load_dwordx2 v[6:7], v38, s[8:9] offset:2048
	v_addc_co_u32_e32 v9, vcc, 0, v3, vcc
	v_add_co_u32_e32 v10, vcc, 0x2000, v2
	s_mov_b64 s[4:5], 0
	s_nop 0
	v_addc_co_u32_e32 v11, vcc, 0, v3, vcc
	global_load_dwordx2 v[12:13], v[8:9], off
	global_load_dwordx2 v[14:15], v[8:9], off offset:2048
	global_load_dwordx2 v[16:17], v[10:11], off
	global_load_dwordx2 v[18:19], v[10:11], off offset:2048
	v_add_co_u32_e32 v8, vcc, 0x3000, v2
	s_nop 1
	v_addc_co_u32_e32 v9, vcc, 0, v3, vcc
	v_add_co_u32_e32 v10, vcc, 0x4000, v2
	s_nop 1
	v_addc_co_u32_e32 v11, vcc, 0, v3, vcc
	global_load_dwordx2 v[20:21], v[8:9], off
	global_load_dwordx2 v[22:23], v[8:9], off offset:2048
	global_load_dwordx2 v[24:25], v[10:11], off
	global_load_dwordx2 v[26:27], v[10:11], off offset:2048
	v_add_co_u32_e32 v8, vcc, 0x5000, v2
	s_nop 1
	v_addc_co_u32_e32 v9, vcc, 0, v3, vcc
	v_add_co_u32_e32 v10, vcc, 0x6000, v2
	s_nop 1
	v_addc_co_u32_e32 v11, vcc, 0, v3, vcc
	global_load_dwordx2 v[28:29], v[8:9], off
	global_load_dwordx2 v[30:31], v[8:9], off offset:2048
	global_load_dwordx2 v[32:33], v[10:11], off
	global_load_dwordx2 v[34:35], v[10:11], off offset:2048
	v_add_co_u32_e32 v2, vcc, 0x7000, v2
	s_nop 1
	v_addc_co_u32_e32 v3, vcc, 0, v3, vcc
	global_load_dwordx2 v[2:3], v[2:3], off
	s_waitcnt vmcnt(13)
	ds_write2st64_b64 v38, v[4:5], v[6:7] offset1:4
	s_waitcnt vmcnt(11)
	ds_write2st64_b64 v38, v[12:13], v[14:15] offset0:8 offset1:12
	s_waitcnt vmcnt(9)
	ds_write2st64_b64 v38, v[16:17], v[18:19] offset0:16 offset1:20
	s_waitcnt vmcnt(7)
	ds_write2st64_b64 v38, v[20:21], v[22:23] offset0:24 offset1:28
	s_waitcnt vmcnt(5)
	ds_write2st64_b64 v38, v[24:25], v[26:27] offset0:32 offset1:36
	s_waitcnt vmcnt(3)
	ds_write2st64_b64 v38, v[28:29], v[30:31] offset0:40 offset1:44
	s_waitcnt vmcnt(1)
	ds_write2st64_b64 v38, v[32:33], v[34:35] offset0:48 offset1:52
	s_waitcnt vmcnt(0)
	ds_write_b64 v38, v[2:3] offset:28672
	s_waitcnt lgkmcnt(0)
	s_barrier
.LBB75_2:
	s_andn2_b64 vcc, exec, s[4:5]
	v_cmp_gt_u32_e64 s[4:5], s22, v0
	s_cbranch_vccnz .LBB75_34
; %bb.3:
	s_load_dwordx2 s[6:7], s[8:9], 0x0
	v_mov_b32_e32 v39, 0
	v_lshl_add_u64 v[4:5], s[8:9], 0, v[38:39]
	s_waitcnt lgkmcnt(0)
	v_mov_b64_e32 v[2:3], s[6:7]
	s_and_saveexec_b64 s[8:9], s[4:5]
	s_cbranch_execz .LBB75_5
; %bb.4:
	global_load_dwordx2 v[2:3], v[4:5], off
.LBB75_5:
	s_or_b64 exec, exec, s[8:9]
	v_or_b32_e32 v1, 0x100, v0
	v_cmp_gt_u32_e32 vcc, s22, v1
	v_mov_b64_e32 v[6:7], s[6:7]
	s_and_saveexec_b64 s[4:5], vcc
	s_cbranch_execz .LBB75_7
; %bb.6:
	global_load_dwordx2 v[6:7], v[4:5], off offset:2048
.LBB75_7:
	s_or_b64 exec, exec, s[4:5]
	v_or_b32_e32 v1, 0x200, v0
	v_cmp_gt_u32_e32 vcc, s22, v1
	v_mov_b64_e32 v[8:9], s[6:7]
	s_and_saveexec_b64 s[4:5], vcc
	s_cbranch_execz .LBB75_9
; %bb.8:
	v_add_co_u32_e32 v8, vcc, 0x1000, v4
	s_nop 1
	v_addc_co_u32_e32 v9, vcc, 0, v5, vcc
	global_load_dwordx2 v[8:9], v[8:9], off
.LBB75_9:
	s_or_b64 exec, exec, s[4:5]
	v_or_b32_e32 v1, 0x300, v0
	v_cmp_gt_u32_e32 vcc, s22, v1
	v_mov_b64_e32 v[10:11], s[6:7]
	s_and_saveexec_b64 s[4:5], vcc
	s_cbranch_execz .LBB75_11
; %bb.10:
	v_add_co_u32_e32 v10, vcc, 0x1000, v4
	s_nop 1
	v_addc_co_u32_e32 v11, vcc, 0, v5, vcc
	global_load_dwordx2 v[10:11], v[10:11], off offset:2048
.LBB75_11:
	s_or_b64 exec, exec, s[4:5]
	v_or_b32_e32 v1, 0x400, v0
	v_cmp_gt_u32_e32 vcc, s22, v1
	v_mov_b64_e32 v[12:13], s[6:7]
	s_and_saveexec_b64 s[4:5], vcc
	s_cbranch_execz .LBB75_13
; %bb.12:
	v_add_co_u32_e32 v12, vcc, 0x2000, v4
	s_nop 1
	v_addc_co_u32_e32 v13, vcc, 0, v5, vcc
	global_load_dwordx2 v[12:13], v[12:13], off
.LBB75_13:
	s_or_b64 exec, exec, s[4:5]
	v_or_b32_e32 v1, 0x500, v0
	v_cmp_gt_u32_e32 vcc, s22, v1
	v_mov_b64_e32 v[14:15], s[6:7]
	s_and_saveexec_b64 s[4:5], vcc
	s_cbranch_execz .LBB75_15
; %bb.14:
	v_add_co_u32_e32 v14, vcc, 0x2000, v4
	s_nop 1
	v_addc_co_u32_e32 v15, vcc, 0, v5, vcc
	global_load_dwordx2 v[14:15], v[14:15], off offset:2048
.LBB75_15:
	;; [unrolled: 24-line block ×6, first 2 shown]
	s_or_b64 exec, exec, s[4:5]
	v_or_b32_e32 v1, 0xe00, v0
	v_cmp_gt_u32_e32 vcc, s22, v1
	v_mov_b64_e32 v[32:33], s[6:7]
	s_and_saveexec_b64 s[4:5], vcc
	s_cbranch_execz .LBB75_33
; %bb.32:
	v_add_co_u32_e32 v4, vcc, 0x7000, v4
	s_nop 1
	v_addc_co_u32_e32 v5, vcc, 0, v5, vcc
	global_load_dwordx2 v[32:33], v[4:5], off
.LBB75_33:
	s_or_b64 exec, exec, s[4:5]
	s_waitcnt vmcnt(0)
	ds_write2st64_b64 v38, v[2:3], v[6:7] offset1:4
	ds_write2st64_b64 v38, v[8:9], v[10:11] offset0:8 offset1:12
	ds_write2st64_b64 v38, v[12:13], v[14:15] offset0:16 offset1:20
	;; [unrolled: 1-line block ×6, first 2 shown]
	ds_write_b64 v38, v[32:33] offset:28672
	s_waitcnt lgkmcnt(0)
	s_barrier
.LBB75_34:
	v_mul_u32_u24_e32 v89, 15, v0
	v_lshlrev_b32_e32 v1, 3, v89
	ds_read_b64 v[40:41], v1 offset:112
	ds_read2_b64 v[2:5], v1 offset0:12 offset1:13
	ds_read2_b64 v[10:13], v1 offset0:10 offset1:11
	;; [unrolled: 1-line block ×6, first 2 shown]
	ds_read2_b64 v[6:9], v1 offset1:1
	s_load_dwordx2 s[8:9], s[0:1], 0x28
	s_cmp_lg_u32 s2, 0
	v_lshrrev_b32_e32 v39, 5, v0
	v_cmp_gt_u32_e32 vcc, 64, v0
	s_waitcnt lgkmcnt(0)
	s_barrier
	s_cbranch_scc0 .LBB75_59
; %bb.35:
	v_mov_b32_e32 v60, v7
	v_pk_mul_f32 v[30:31], v[8:9], v[6:7]
	v_mov_b32_e32 v32, v9
	v_pk_mul_f32 v[34:35], v[60:61], v[8:9]
	v_mov_b32_e32 v30, v31
	v_pk_fma_f32 v[32:33], v[32:33], v[6:7], v[34:35]
	v_mov_b32_e32 v58, v27
	v_pk_fma_f32 v[30:31], v[8:9], v[6:7], v[30:31] neg_lo:[0,0,1] neg_hi:[0,0,1]
	v_pk_mul_f32 v[34:35], v[32:33], v[58:59]
	v_mov_b32_e32 v42, v29
	v_pk_fma_f32 v[34:35], v[30:31], v[26:27], v[34:35] neg_lo:[0,0,1] neg_hi:[0,0,1]
	v_pk_mul_f32 v[30:31], v[30:31], v[58:59]
	v_mov_b32_e32 v44, v23
	v_pk_fma_f32 v[30:31], v[32:33], v[26:27], v[30:31]
	v_mov_b32_e32 v46, v25
	v_pk_mul_f32 v[32:33], v[30:31], v[42:43]
	v_mov_b32_e32 v48, v19
	v_pk_fma_f32 v[32:33], v[34:35], v[28:29], v[32:33] neg_lo:[0,0,1] neg_hi:[0,0,1]
	v_pk_mul_f32 v[34:35], v[34:35], v[42:43]
	v_mov_b32_e32 v56, v21
	v_pk_fma_f32 v[30:31], v[30:31], v[28:29], v[34:35]
	v_mov_b32_e32 v54, v15
	v_pk_mul_f32 v[34:35], v[30:31], v[44:45]
	v_mov_b32_e32 v52, v11
	v_pk_fma_f32 v[34:35], v[32:33], v[22:23], v[34:35] neg_lo:[0,0,1] neg_hi:[0,0,1]
	v_pk_mul_f32 v[32:33], v[32:33], v[44:45]
	v_mov_b32_e32 v50, v3
	v_pk_fma_f32 v[30:31], v[30:31], v[22:23], v[32:33]
	s_nop 0
	v_pk_mul_f32 v[32:33], v[30:31], v[46:47]
	s_nop 0
	v_pk_fma_f32 v[32:33], v[34:35], v[24:25], v[32:33] neg_lo:[0,0,1] neg_hi:[0,0,1]
	v_pk_mul_f32 v[34:35], v[34:35], v[46:47]
	s_nop 0
	v_pk_fma_f32 v[30:31], v[30:31], v[24:25], v[34:35]
	s_nop 0
	v_pk_mul_f32 v[34:35], v[30:31], v[48:49]
	s_nop 0
	v_pk_fma_f32 v[34:35], v[32:33], v[18:19], v[34:35] neg_lo:[0,0,1] neg_hi:[0,0,1]
	v_pk_mul_f32 v[32:33], v[32:33], v[48:49]
	s_nop 0
	;; [unrolled: 7-line block ×4, first 2 shown]
	v_pk_fma_f32 v[30:31], v[30:31], v[14:15], v[32:33]
	v_mov_b32_e32 v32, v17
	v_pk_mul_f32 v[36:37], v[30:31], v[32:33]
	v_pk_mul_f32 v[32:33], v[34:35], v[32:33]
	v_pk_fma_f32 v[36:37], v[34:35], v[16:17], v[36:37] neg_lo:[0,0,1] neg_hi:[0,0,1]
	v_pk_fma_f32 v[30:31], v[30:31], v[16:17], v[32:33]
	v_pk_mul_f32 v[34:35], v[36:37], v[52:53]
	v_pk_mul_f32 v[32:33], v[30:31], v[52:53]
	v_pk_fma_f32 v[30:31], v[30:31], v[10:11], v[34:35]
	v_mov_b32_e32 v34, v13
	v_pk_fma_f32 v[32:33], v[36:37], v[10:11], v[32:33] neg_lo:[0,0,1] neg_hi:[0,0,1]
	v_pk_mul_f32 v[36:37], v[30:31], v[34:35]
	s_nop 0
	v_pk_fma_f32 v[36:37], v[32:33], v[12:13], v[36:37] neg_lo:[0,0,1] neg_hi:[0,0,1]
	v_pk_mul_f32 v[32:33], v[32:33], v[34:35]
	v_pk_mul_f32 v[34:35], v[36:37], v[50:51]
	v_pk_fma_f32 v[30:31], v[30:31], v[12:13], v[32:33]
	s_nop 0
	v_pk_mul_f32 v[32:33], v[30:31], v[50:51]
	v_pk_fma_f32 v[30:31], v[30:31], v[2:3], v[34:35]
	v_mov_b32_e32 v34, v5
	v_pk_fma_f32 v[32:33], v[36:37], v[2:3], v[32:33] neg_lo:[0,0,1] neg_hi:[0,0,1]
	v_pk_mul_f32 v[36:37], v[30:31], v[34:35]
	s_nop 0
	v_pk_fma_f32 v[36:37], v[32:33], v[4:5], v[36:37] neg_lo:[0,0,1] neg_hi:[0,0,1]
	v_pk_mul_f32 v[32:33], v[32:33], v[34:35]
	s_nop 0
	v_pk_fma_f32 v[30:31], v[30:31], v[4:5], v[32:33]
	s_nop 0
	v_pk_mul_f32 v[30:31], v[40:41], v[30:31] op_sel_hi:[1,0]
	s_nop 0
	v_pk_fma_f32 v[62:63], v[40:41], v[36:37], v[30:31] op_sel:[0,0,1] op_sel_hi:[1,0,0] neg_lo:[0,0,1] neg_hi:[0,0,1]
	v_pk_fma_f32 v[30:31], v[40:41], v[36:37], v[30:31] op_sel:[0,0,1] op_sel_hi:[1,0,0]
	s_nop 0
	v_mov_b32_e32 v63, v31
	v_add_lshl_u32 v30, v39, v0, 3
	ds_write_b64 v30, v[62:63]
	s_waitcnt lgkmcnt(0)
	s_barrier
	s_and_saveexec_b64 s[6:7], vcc
	s_cbranch_execz .LBB75_37
; %bb.36:
	v_lshlrev_b32_e32 v30, 2, v0
	v_lshrrev_b32_e32 v32, 3, v0
	v_add_lshl_u32 v43, v32, v30, 3
	ds_read2_b64 v[32:35], v43 offset1:1
	ds_read2_b64 v[64:67], v43 offset0:2 offset1:3
	s_waitcnt lgkmcnt(1)
	v_pk_mul_f32 v[36:37], v[32:33], v[34:35] op_sel:[1,0] op_sel_hi:[0,1]
	v_mul_f32_e32 v30, v32, v34
	v_add_f32_e32 v37, v36, v37
	v_fma_f32 v45, -v33, v35, v30
	s_waitcnt lgkmcnt(0)
	v_mul_f32_e32 v30, v37, v65
	v_fma_f32 v30, v64, v45, -v30
	v_mul_f32_e32 v36, v45, v65
	v_fmac_f32_e32 v36, v64, v37
	v_pk_mul_f32 v[68:69], v[30:31], v[66:67] op_sel_hi:[0,1]
	v_pk_fma_f32 v[70:71], v[66:67], v[36:37], v[68:69] op_sel:[0,0,1] op_sel_hi:[1,0,0]
	v_pk_fma_f32 v[36:37], v[66:67], v[36:37], v[68:69] op_sel:[0,0,1] op_sel_hi:[1,0,0] neg_lo:[1,0,0] neg_hi:[1,0,0]
	v_mbcnt_lo_u32_b32 v30, -1, 0
	v_mbcnt_hi_u32_b32 v45, -1, v30
	v_mov_b32_dpp v69, v37 row_shr:1 row_mask:0xf bank_mask:0xf
	v_mov_b32_dpp v68, v70 row_shr:1 row_mask:0xf bank_mask:0xf
	v_and_b32_e32 v47, 15, v45
	v_pk_mul_f32 v[72:73], v[70:71], v[68:69] op_sel_hi:[0,1]
	v_pk_fma_f32 v[74:75], v[36:37], v[68:69], v[72:73] op_sel:[1,0,1] op_sel_hi:[1,1,0]
	v_pk_fma_f32 v[68:69], v[36:37], v[68:69], v[72:73] op_sel:[1,0,1] op_sel_hi:[1,1,0] neg_lo:[0,0,1] neg_hi:[0,0,1]
	v_cmp_eq_u32_e64 s[4:5], 0, v47
	s_nop 1
	v_cndmask_b32_e64 v30, v69, v37, s[4:5]
	v_cndmask_b32_e64 v36, v74, v70, s[4:5]
	v_cmp_lt_u32_e64 s[4:5], 1, v47
	v_mov_b32_dpp v69, v30 row_shr:2 row_mask:0xf bank_mask:0xf
	v_mov_b32_dpp v68, v36 row_shr:2 row_mask:0xf bank_mask:0xf
	v_pk_mul_f32 v[70:71], v[36:37], v[68:69] op_sel_hi:[0,1]
	v_pk_fma_f32 v[72:73], v[30:31], v[68:69], v[70:71] op_sel:[0,0,1] op_sel_hi:[0,1,0]
	v_pk_fma_f32 v[68:69], v[30:31], v[68:69], v[70:71] op_sel:[0,0,1] op_sel_hi:[0,1,0] neg_lo:[0,0,1] neg_hi:[0,0,1]
	v_cndmask_b32_e64 v30, v30, v69, s[4:5]
	v_cndmask_b32_e64 v36, v36, v72, s[4:5]
	v_cmp_lt_u32_e64 s[4:5], 3, v47
	v_mov_b32_dpp v69, v30 row_shr:4 row_mask:0xf bank_mask:0xf
	v_mov_b32_dpp v68, v36 row_shr:4 row_mask:0xf bank_mask:0xf
	v_pk_mul_f32 v[70:71], v[36:37], v[68:69] op_sel_hi:[0,1]
	v_pk_fma_f32 v[72:73], v[30:31], v[68:69], v[70:71] op_sel:[0,0,1] op_sel_hi:[0,1,0]
	v_pk_fma_f32 v[68:69], v[30:31], v[68:69], v[70:71] op_sel:[0,0,1] op_sel_hi:[0,1,0] neg_lo:[0,0,1] neg_hi:[0,0,1]
	;; [unrolled: 8-line block ×3, first 2 shown]
	v_cndmask_b32_e64 v30, v30, v69, s[4:5]
	v_cndmask_b32_e64 v36, v36, v72, s[4:5]
	v_and_b32_e32 v37, 16, v45
	v_mov_b32_dpp v69, v30 row_bcast:15 row_mask:0xf bank_mask:0xf
	v_mov_b32_dpp v68, v36 row_bcast:15 row_mask:0xf bank_mask:0xf
	v_pk_mul_f32 v[70:71], v[36:37], v[68:69] op_sel_hi:[0,1]
	v_pk_fma_f32 v[72:73], v[30:31], v[68:69], v[70:71] op_sel:[0,0,1] op_sel_hi:[0,1,0]
	v_cmp_eq_u32_e64 s[4:5], 0, v37
	v_pk_fma_f32 v[68:69], v[30:31], v[68:69], v[70:71] op_sel:[0,0,1] op_sel_hi:[0,1,0] neg_lo:[0,0,1] neg_hi:[0,0,1]
	s_nop 0
	v_cndmask_b32_e64 v36, v72, v36, s[4:5]
	v_cndmask_b32_e64 v30, v69, v30, s[4:5]
	v_cmp_lt_u32_e64 s[4:5], 31, v45
	v_mov_b32_dpp v47, v36 row_bcast:31 row_mask:0xf bank_mask:0xf
	v_mov_b32_dpp v37, v30 row_bcast:31 row_mask:0xf bank_mask:0xf
	v_mul_f32_e32 v49, v30, v47
	v_mul_f32_e32 v47, v36, v47
	v_fmac_f32_e32 v49, v36, v37
	v_fma_f32 v37, v30, v37, -v47
	v_cndmask_b32_e64 v30, v30, v37, s[4:5]
	v_add_u32_e32 v37, -1, v45
	v_and_b32_e32 v47, 64, v45
	v_cndmask_b32_e64 v36, v36, v49, s[4:5]
	v_cmp_lt_i32_e64 s[4:5], v37, v47
	s_nop 1
	v_cndmask_b32_e64 v37, v37, v45, s[4:5]
	v_lshlrev_b32_e32 v37, 2, v37
	ds_bpermute_b32 v36, v37, v36
	ds_bpermute_b32 v30, v37, v30
	v_cmp_eq_u32_e64 s[4:5], 0, v0
	s_waitcnt lgkmcnt(1)
	v_mul_f32_e32 v37, v33, v36
	s_waitcnt lgkmcnt(0)
	v_fma_f32 v37, v32, v30, -v37
	v_mul_f32_e32 v32, v32, v36
	v_fmac_f32_e32 v32, v33, v30
	v_cndmask_b32_e64 v30, v37, v62, s[4:5]
	v_cndmask_b32_e64 v31, v32, v31, s[4:5]
	v_mul_f32_e32 v32, v35, v31
	v_mul_f32_e32 v33, v35, v30
	v_fma_f32 v32, v34, v30, -v32
	v_fmac_f32_e32 v33, v34, v31
	ds_write2_b64 v43, v[30:31], v[32:33] offset1:1
	v_mul_f32_e32 v30, v65, v33
	v_mul_f32_e32 v31, v65, v32
	v_fma_f32 v30, v64, v32, -v30
	v_fmac_f32_e32 v31, v64, v33
	v_mul_f32_e32 v32, v67, v31
	v_mul_f32_e32 v33, v67, v30
	v_fma_f32 v32, v66, v30, -v32
	v_fmac_f32_e32 v33, v66, v31
	ds_write2_b64 v43, v[30:31], v[32:33] offset0:2 offset1:3
.LBB75_37:
	s_or_b64 exec, exec, s[6:7]
	v_cmp_eq_u32_e64 s[6:7], 0, v0
	v_cmp_ne_u32_e64 s[4:5], 0, v0
	s_waitcnt lgkmcnt(0)
	s_barrier
	s_and_saveexec_b64 s[16:17], s[4:5]
	s_cbranch_execz .LBB75_39
; %bb.38:
	v_add_u32_e32 v30, -1, v0
	v_lshrrev_b32_e32 v31, 5, v30
	v_add_lshl_u32 v30, v31, v30, 3
	ds_read_b64 v[62:63], v30
.LBB75_39:
	s_or_b64 exec, exec, s[16:17]
	s_and_saveexec_b64 s[16:17], vcc
	s_cbranch_execz .LBB75_58
; %bb.40:
	v_mov_b32_e32 v33, 0
	ds_read_b64 v[30:31], v33 offset:2096
	v_mbcnt_lo_u32_b32 v32, -1, 0
	v_mbcnt_hi_u32_b32 v65, -1, v32
	s_mov_b32 s21, 0
	v_cmp_eq_u32_e64 s[4:5], 0, v65
	s_waitcnt lgkmcnt(0)
	v_readfirstlane_b32 s3, v31
	s_and_saveexec_b64 s[18:19], s[4:5]
	s_cbranch_execz .LBB75_42
; %bb.41:
	s_add_i32 s20, s2, 64
	s_lshl_b64 s[24:25], s[20:21], 4
	s_add_u32 s24, s8, s24
	s_addc_u32 s25, s9, s25
	s_and_b32 s27, s3, 0xff000000
	s_mov_b32 s26, s21
	s_and_b32 s29, s3, 0xff0000
	s_mov_b32 s28, s21
	s_or_b64 s[26:27], s[28:29], s[26:27]
	s_and_b32 s29, s3, 0xff00
	s_or_b64 s[26:27], s[26:27], s[28:29]
	s_and_b32 s29, s3, 0xff
	s_or_b64 s[20:21], s[26:27], s[28:29]
	v_mov_b32_e32 v31, s21
	v_mov_b32_e32 v32, 1
	v_mov_b64_e32 v[34:35], s[24:25]
	;;#ASMSTART
	global_store_dwordx4 v[34:35], v[30:33] off sc1	
s_waitcnt vmcnt(0)
	;;#ASMEND
.LBB75_42:
	s_or_b64 exec, exec, s[18:19]
	v_xad_u32 v64, v65, -1, s2
	v_add_u32_e32 v32, 64, v64
	v_lshl_add_u64 v[68:69], v[32:33], 4, s[8:9]
	;;#ASMSTART
	global_load_dwordx4 v[34:37], v[68:69] off sc1	
s_waitcnt vmcnt(0)
	;;#ASMEND
	s_nop 0
	v_mov_b32_e32 v66, v35
	v_cmp_eq_u16_sdwa s[20:21], v36, v33 src0_sel:BYTE_0 src1_sel:DWORD
	s_and_saveexec_b64 s[18:19], s[20:21]
	s_cbranch_execz .LBB75_46
; %bb.43:
	s_mov_b64 s[20:21], 0
	v_mov_b32_e32 v31, 0
.LBB75_44:                              ; =>This Inner Loop Header: Depth=1
	;;#ASMSTART
	global_load_dwordx4 v[34:37], v[68:69] off sc1	
s_waitcnt vmcnt(0)
	;;#ASMEND
	s_nop 0
	v_cmp_ne_u16_sdwa s[24:25], v36, v31 src0_sel:BYTE_0 src1_sel:DWORD
	s_or_b64 s[20:21], s[24:25], s[20:21]
	s_andn2_b64 exec, exec, s[20:21]
	s_cbranch_execnz .LBB75_44
; %bb.45:
	s_or_b64 exec, exec, s[20:21]
	v_mov_b32_e32 v66, v35
.LBB75_46:
	s_or_b64 exec, exec, s[18:19]
	v_and_b32_e32 v74, 63, v65
	v_cmp_ne_u32_e32 vcc, 63, v74
	v_mov_b32_e32 v31, 2
	v_cmp_eq_u16_sdwa s[18:19], v36, v31 src0_sel:BYTE_0 src1_sel:DWORD
	v_addc_co_u32_e32 v43, vcc, 0, v65, vcc
	v_lshlrev_b32_e32 v43, 2, v43
	v_lshlrev_b64 v[32:33], v65, -1
	ds_bpermute_b32 v68, v43, v66
	v_and_b32_e32 v35, s19, v33
	ds_bpermute_b32 v70, v43, v34
	v_or_b32_e32 v35, 0x80000000, v35
	v_and_b32_e32 v37, s18, v32
	v_ffbl_b32_e32 v35, v35
	v_mov_b32_e32 v67, v34
	v_add_u32_e32 v35, 32, v35
	v_ffbl_b32_e32 v37, v37
	v_min_u32_e32 v37, v37, v35
	v_add_u32_e32 v45, 1, v65
	s_waitcnt lgkmcnt(1)
	v_pk_mul_f32 v[68:69], v[68:69], v[66:67] op_sel_hi:[0,1]
	s_waitcnt lgkmcnt(0)
	v_pk_fma_f32 v[72:73], v[70:71], v[66:67], v[68:69] op_sel:[0,0,1] op_sel_hi:[1,1,0]
	v_pk_fma_f32 v[68:69], v[70:71], v[66:67], v[68:69] op_sel:[0,0,1] op_sel_hi:[0,1,0] neg_lo:[0,0,1] neg_hi:[0,0,1]
	v_cmp_gt_u32_e32 vcc, v45, v37
	v_add_u32_e32 v49, 2, v65
	v_add_u32_e32 v53, 4, v65
	v_cndmask_b32_e32 v35, v69, v34, vcc
	v_cndmask_b32_e32 v34, v72, v66, vcc
	v_cmp_gt_u32_e32 vcc, 62, v74
	v_add_u32_e32 v57, 8, v65
	v_add_u32_e32 v61, 16, v65
	v_cndmask_b32_e64 v47, 0, 1, vcc
	v_lshlrev_b32_e32 v47, 1, v47
	v_add_lshl_u32 v47, v47, v65, 2
	ds_bpermute_b32 v66, v47, v34
	ds_bpermute_b32 v68, v47, v35
	v_cmp_gt_u32_e32 vcc, v49, v37
	v_add_u32_e32 v73, 32, v65
	s_waitcnt lgkmcnt(1)
	v_pk_mul_f32 v[66:67], v[34:35], v[66:67] op_sel_hi:[1,0]
	s_waitcnt lgkmcnt(0)
	v_pk_fma_f32 v[70:71], v[34:35], v[68:69], v[66:67] op_sel:[0,0,1] op_sel_hi:[1,1,0]
	v_pk_fma_f32 v[66:67], v[34:35], v[68:69], v[66:67] op_sel:[0,0,1] op_sel_hi:[1,0,0] neg_lo:[0,0,1] neg_hi:[0,0,1]
	v_cndmask_b32_e32 v34, v70, v34, vcc
	v_cndmask_b32_e32 v35, v67, v35, vcc
	v_cmp_gt_u32_e32 vcc, 60, v74
	s_nop 1
	v_cndmask_b32_e64 v51, 0, 1, vcc
	v_lshlrev_b32_e32 v51, 2, v51
	v_add_lshl_u32 v51, v51, v65, 2
	ds_bpermute_b32 v66, v51, v34
	ds_bpermute_b32 v68, v51, v35
	v_cmp_gt_u32_e32 vcc, v53, v37
	s_waitcnt lgkmcnt(1)
	v_pk_mul_f32 v[66:67], v[34:35], v[66:67] op_sel_hi:[1,0]
	s_waitcnt lgkmcnt(0)
	v_pk_fma_f32 v[70:71], v[34:35], v[68:69], v[66:67] op_sel:[0,0,1] op_sel_hi:[1,1,0]
	v_pk_fma_f32 v[66:67], v[34:35], v[68:69], v[66:67] op_sel:[0,0,1] op_sel_hi:[1,0,0] neg_lo:[0,0,1] neg_hi:[0,0,1]
	v_cndmask_b32_e32 v34, v70, v34, vcc
	v_cndmask_b32_e32 v35, v67, v35, vcc
	v_cmp_gt_u32_e32 vcc, 56, v74
	s_nop 1
	v_cndmask_b32_e64 v55, 0, 1, vcc
	v_lshlrev_b32_e32 v55, 3, v55
	v_add_lshl_u32 v55, v55, v65, 2
	ds_bpermute_b32 v66, v55, v34
	ds_bpermute_b32 v68, v55, v35
	v_cmp_gt_u32_e32 vcc, v57, v37
	;; [unrolled: 15-line block ×4, first 2 shown]
	s_waitcnt lgkmcnt(1)
	v_mul_f32_e32 v65, v34, v66
	v_mul_f32_e32 v66, v35, v66
	s_waitcnt lgkmcnt(0)
	v_fma_f32 v65, v35, v67, -v65
	v_fmac_f32_e32 v66, v34, v67
	v_cndmask_b32_e32 v34, v66, v34, vcc
	v_cndmask_b32_e32 v35, v65, v35, vcc
	v_mov_b32_e32 v65, 0
	s_branch .LBB75_48
.LBB75_47:                              ;   in Loop: Header=BB75_48 Depth=1
	s_or_b64 exec, exec, s[18:19]
	v_cmp_eq_u16_sdwa s[18:19], v36, v31 src0_sel:BYTE_0 src1_sel:DWORD
	ds_bpermute_b32 v70, v43, v68
	ds_bpermute_b32 v74, v43, v34
	v_and_b32_e32 v35, s19, v33
	v_or_b32_e32 v35, 0x80000000, v35
	v_and_b32_e32 v37, s18, v32
	v_ffbl_b32_e32 v35, v35
	v_mov_b32_e32 v69, v34
	v_add_u32_e32 v35, 32, v35
	v_ffbl_b32_e32 v37, v37
	v_min_u32_e32 v37, v37, v35
	s_waitcnt lgkmcnt(1)
	v_pk_mul_f32 v[70:71], v[70:71], v[68:69] op_sel_hi:[0,1]
	s_waitcnt lgkmcnt(0)
	v_pk_fma_f32 v[76:77], v[74:75], v[68:69], v[70:71] op_sel:[0,0,1] op_sel_hi:[1,1,0]
	v_pk_fma_f32 v[70:71], v[74:75], v[68:69], v[70:71] op_sel:[0,0,1] op_sel_hi:[0,1,0] neg_lo:[0,0,1] neg_hi:[0,0,1]
	v_cmp_gt_u32_e32 vcc, v45, v37
	v_subrev_u32_e32 v64, 64, v64
	s_nop 0
	v_cndmask_b32_e32 v35, v71, v34, vcc
	v_cndmask_b32_e32 v34, v76, v68, vcc
	ds_bpermute_b32 v68, v47, v34
	ds_bpermute_b32 v70, v47, v35
	v_cmp_gt_u32_e32 vcc, v49, v37
	s_waitcnt lgkmcnt(1)
	v_pk_mul_f32 v[68:69], v[34:35], v[68:69] op_sel_hi:[1,0]
	s_waitcnt lgkmcnt(0)
	v_pk_fma_f32 v[74:75], v[34:35], v[70:71], v[68:69] op_sel:[0,0,1] op_sel_hi:[1,1,0]
	v_pk_fma_f32 v[68:69], v[34:35], v[70:71], v[68:69] op_sel:[0,0,1] op_sel_hi:[1,0,0] neg_lo:[0,0,1] neg_hi:[0,0,1]
	v_cndmask_b32_e32 v34, v74, v34, vcc
	v_cndmask_b32_e32 v35, v69, v35, vcc
	ds_bpermute_b32 v68, v51, v34
	ds_bpermute_b32 v70, v51, v35
	v_cmp_gt_u32_e32 vcc, v53, v37
	s_waitcnt lgkmcnt(1)
	v_pk_mul_f32 v[68:69], v[34:35], v[68:69] op_sel_hi:[1,0]
	s_waitcnt lgkmcnt(0)
	v_pk_fma_f32 v[74:75], v[34:35], v[70:71], v[68:69] op_sel:[0,0,1] op_sel_hi:[1,1,0]
	v_pk_fma_f32 v[68:69], v[34:35], v[70:71], v[68:69] op_sel:[0,0,1] op_sel_hi:[1,0,0] neg_lo:[0,0,1] neg_hi:[0,0,1]
	;; [unrolled: 10-line block ×4, first 2 shown]
	v_cndmask_b32_e32 v34, v74, v34, vcc
	v_cndmask_b32_e32 v35, v69, v35, vcc
	ds_bpermute_b32 v69, v72, v35
	ds_bpermute_b32 v68, v72, v34
	v_cmp_gt_u32_e32 vcc, v73, v37
	s_waitcnt lgkmcnt(0)
	v_pk_mul_f32 v[70:71], v[34:35], v[68:69]
	v_mul_f32_e32 v69, v34, v69
	v_fmac_f32_e32 v69, v35, v68
	v_sub_f32_e32 v70, v71, v70
	v_cndmask_b32_e32 v34, v69, v34, vcc
	v_cndmask_b32_e32 v37, v70, v35, vcc
	v_mul_f32_e32 v35, v67, v34
	v_mul_f32_e32 v34, v66, v34
	v_fma_f32 v35, v66, v37, -v35
	v_fmac_f32_e32 v34, v67, v37
.LBB75_48:                              ; =>This Loop Header: Depth=1
                                        ;     Child Loop BB75_51 Depth 2
	v_cmp_ne_u16_sdwa s[18:19], v36, v31 src0_sel:BYTE_0 src1_sel:DWORD
	v_mov_b32_e32 v66, v35
	v_mov_b32_e32 v67, v34
	v_cndmask_b32_e64 v35, 0, 1, s[18:19]
	;;#ASMSTART
	;;#ASMEND
	s_nop 0
	v_cmp_ne_u32_e32 vcc, 0, v35
	s_cmp_lg_u64 vcc, exec
	s_cbranch_scc1 .LBB75_53
; %bb.49:                               ;   in Loop: Header=BB75_48 Depth=1
	v_lshl_add_u64 v[70:71], v[64:65], 4, s[8:9]
	;;#ASMSTART
	global_load_dwordx4 v[34:37], v[70:71] off sc1	
s_waitcnt vmcnt(0)
	;;#ASMEND
	s_nop 0
	v_mov_b32_e32 v68, v35
	v_cmp_eq_u16_sdwa s[20:21], v36, v65 src0_sel:BYTE_0 src1_sel:DWORD
	s_and_saveexec_b64 s[18:19], s[20:21]
	s_cbranch_execz .LBB75_47
; %bb.50:                               ;   in Loop: Header=BB75_48 Depth=1
	s_mov_b64 s[20:21], 0
.LBB75_51:                              ;   Parent Loop BB75_48 Depth=1
                                        ; =>  This Inner Loop Header: Depth=2
	;;#ASMSTART
	global_load_dwordx4 v[34:37], v[70:71] off sc1	
s_waitcnt vmcnt(0)
	;;#ASMEND
	s_nop 0
	v_cmp_ne_u16_sdwa s[24:25], v36, v65 src0_sel:BYTE_0 src1_sel:DWORD
	s_or_b64 s[20:21], s[24:25], s[20:21]
	s_andn2_b64 exec, exec, s[20:21]
	s_cbranch_execnz .LBB75_51
; %bb.52:                               ;   in Loop: Header=BB75_48 Depth=1
	s_or_b64 exec, exec, s[20:21]
	v_mov_b32_e32 v68, v35
	s_branch .LBB75_47
.LBB75_53:                              ;   in Loop: Header=BB75_48 Depth=1
                                        ; implicit-def: $vgpr36
                                        ; implicit-def: $vgpr35
                                        ; implicit-def: $vgpr34
	s_cbranch_execz .LBB75_48
; %bb.54:
	s_and_saveexec_b64 s[18:19], s[4:5]
	s_cbranch_execz .LBB75_56
; %bb.55:
	v_mul_f32_e32 v31, s3, v67
	v_fma_f32 v32, v66, v30, -v31
	v_mul_f32_e32 v31, s3, v66
	s_add_i32 s2, s2, 64
	s_mov_b32 s3, 0
	v_fmac_f32_e32 v31, v67, v30
	s_lshl_b64 s[2:3], s[2:3], 4
	s_add_u32 s2, s8, s2
	v_and_b32_e32 v30, 0xff000000, v31
	v_and_b32_e32 v33, 0xff0000, v31
	s_addc_u32 s3, s9, s3
	v_or_b32_e32 v30, v33, v30
	v_and_b32_e32 v33, 0xff00, v31
	v_and_b32_e32 v31, 0xff, v31
	v_mov_b32_e32 v35, 0
	v_or3_b32 v33, v30, v33, v31
	v_mov_b32_e32 v34, 2
	v_mov_b64_e32 v[30:31], s[2:3]
	;;#ASMSTART
	global_store_dwordx4 v[30:31], v[32:35] off sc1	
s_waitcnt vmcnt(0)
	;;#ASMEND
.LBB75_56:
	s_or_b64 exec, exec, s[18:19]
	s_and_b64 exec, exec, s[6:7]
	s_cbranch_execz .LBB75_58
; %bb.57:
	v_mov_b32_e32 v30, 0
	ds_write_b64 v30, v[66:67]
.LBB75_58:
	s_or_b64 exec, exec, s[16:17]
	s_waitcnt lgkmcnt(0)
	v_pk_mul_f32 v[30:31], v[6:7], v[62:63]
	s_nop 0
	v_sub_f32_e32 v33, v30, v31
	v_mov_b32_e32 v30, 0
	s_barrier
	ds_read_b64 v[30:31], v30
	v_mul_f32_e32 v32, v60, v62
	v_fmac_f32_e32 v32, v63, v6
	v_cndmask_b32_e64 v32, v32, v7, s[6:7]
	v_cndmask_b32_e64 v34, v33, v6, s[6:7]
	s_waitcnt lgkmcnt(0)
	v_pk_mul_f32 v[32:33], v[32:33], v[30:31] op_sel_hi:[0,1]
	v_pk_fma_f32 v[36:37], v[34:35], v[30:31], v[32:33] op_sel:[0,0,1] op_sel_hi:[0,1,0] neg_lo:[0,0,1] neg_hi:[0,0,1]
	v_pk_fma_f32 v[30:31], v[34:35], v[30:31], v[32:33] op_sel:[0,0,1] op_sel_hi:[0,1,0]
	v_mov_b32_e32 v67, v31
	v_pk_mul_f32 v[30:31], v[30:31], v[8:9] op_sel:[1,0]
	v_mov_b32_e32 v66, v36
	v_pk_fma_f32 v[32:33], v[36:37], v[8:9], v[30:31] op_sel:[0,0,1] op_sel_hi:[1,1,0] neg_lo:[0,0,1] neg_hi:[0,0,1]
	v_pk_fma_f32 v[30:31], v[36:37], v[8:9], v[30:31] op_sel:[0,0,1] op_sel_hi:[0,1,0]
	v_pk_mul_f32 v[34:35], v[30:31], v[26:27]
	v_mov_b32_e32 v33, v31
	v_mov_b32_e32 v30, v35
	v_pk_fma_f32 v[34:35], v[32:33], v[26:27], v[30:31] neg_lo:[0,0,1] neg_hi:[0,0,1]
	v_mov_b32_e32 v30, v31
	v_pk_mul_f32 v[30:31], v[30:31], v[26:27]
	s_nop 0
	v_pk_fma_f32 v[36:37], v[32:33], v[58:59], v[30:31]
	v_mov_b32_e32 v30, v34
	v_mov_b32_e32 v31, v36
	v_pk_mul_f32 v[58:59], v[30:31], v[28:29]
	s_nop 0
	v_mov_b32_e32 v58, v59
	v_pk_fma_f32 v[30:31], v[30:31], v[28:29], v[58:59] neg_lo:[0,0,1] neg_hi:[0,0,1]
	v_pk_mul_f32 v[58:59], v[36:37], v[28:29]
	v_mov_b32_e32 v37, v30
	v_pk_fma_f32 v[42:43], v[34:35], v[42:43], v[58:59]
	v_mov_b32_e32 v58, v30
	v_mov_b32_e32 v59, v42
	v_pk_mul_f32 v[60:61], v[58:59], v[22:23]
	s_nop 0
	v_mov_b32_e32 v60, v61
	v_pk_fma_f32 v[62:63], v[58:59], v[22:23], v[60:61] neg_lo:[0,0,1] neg_hi:[0,0,1]
	v_pk_mul_f32 v[58:59], v[42:43], v[22:23]
	v_mov_b32_e32 v43, v62
	;; [unrolled: 9-line block ×6, first 2 shown]
	v_pk_fma_f32 v[54:55], v[72:73], v[54:55], v[58:59]
	s_nop 0
	v_pk_mul_f32 v[58:59], v[54:55], v[16:17] op_sel_hi:[0,1]
	v_pk_fma_f32 v[60:61], v[74:75], v[16:17], v[58:59] op_sel:[0,0,1] op_sel_hi:[0,1,0]
	v_pk_fma_f32 v[76:77], v[74:75], v[16:17], v[58:59] op_sel:[0,0,1] op_sel_hi:[1,1,0] neg_lo:[0,0,1] neg_hi:[0,0,1]
	v_pk_mul_f32 v[58:59], v[60:61], v[10:11]
	v_mov_b32_e32 v77, v61
	v_mov_b32_e32 v58, v59
	v_pk_fma_f32 v[78:79], v[76:77], v[10:11], v[58:59] neg_lo:[0,0,1] neg_hi:[0,0,1]
	v_mov_b32_e32 v58, v61
	v_pk_mul_f32 v[58:59], v[58:59], v[10:11]
	v_mov_b32_e32 v55, v76
	v_pk_fma_f32 v[58:59], v[76:77], v[52:53], v[58:59]
	s_nop 0
	v_pk_mul_f32 v[52:53], v[58:59], v[12:13] op_sel_hi:[0,1]
	v_pk_fma_f32 v[80:81], v[78:79], v[12:13], v[52:53] op_sel:[0,0,1] op_sel_hi:[1,1,0] neg_lo:[0,0,1] neg_hi:[0,0,1]
	v_pk_fma_f32 v[52:53], v[78:79], v[12:13], v[52:53] op_sel:[0,0,1] op_sel_hi:[0,1,0]
	v_pk_mul_f32 v[64:65], v[52:53], v[2:3]
	v_mov_b32_e32 v81, v53
	v_mov_b32_e32 v52, v65
	v_pk_fma_f32 v[82:83], v[80:81], v[2:3], v[52:53] neg_lo:[0,0,1] neg_hi:[0,0,1]
	v_mov_b32_e32 v52, v53
	v_pk_mul_f32 v[64:65], v[52:53], v[2:3]
	v_mov_b32_e32 v52, v41
	v_pk_fma_f32 v[64:65], v[80:81], v[50:51], v[64:65]
	v_mov_b32_e32 v59, v80
	v_pk_mul_f32 v[50:51], v[64:65], v[4:5] op_sel:[0,1] op_sel_hi:[0,0]
	v_pk_fma_f32 v[84:85], v[82:83], v[4:5], v[50:51] op_sel_hi:[0,1,1] neg_lo:[0,0,1] neg_hi:[0,0,1]
	v_pk_fma_f32 v[86:87], v[82:83], v[4:5], v[50:51] op_sel_hi:[0,1,1]
	v_mov_b32_e32 v50, v87
	v_mov_b32_e32 v51, v84
	v_pk_mul_f32 v[90:91], v[52:53], v[50:51]
	v_pk_mul_f32 v[50:51], v[40:41], v[50:51]
	v_pk_fma_f32 v[90:91], v[40:41], v[84:85], v[90:91] neg_lo:[0,0,1] neg_hi:[0,0,1]
	v_add_f32_e32 v60, v51, v50
	v_mov_b32_e32 v50, v61
	v_mov_b32_e32 v51, v78
	;; [unrolled: 1-line block ×7, first 2 shown]
	s_load_dwordx4 s[4:7], s[0:1], 0x38
	s_branch .LBB75_69
.LBB75_59:
                                        ; implicit-def: $vgpr66_vgpr67
                                        ; implicit-def: $vgpr60
                                        ; implicit-def: $vgpr34
                                        ; implicit-def: $vgpr62_vgpr63
                                        ; implicit-def: $vgpr64_vgpr65
                                        ; implicit-def: $vgpr52_vgpr53
                                        ; implicit-def: $vgpr58_vgpr59
                                        ; implicit-def: $vgpr50_vgpr51
                                        ; implicit-def: $vgpr54_vgpr55
                                        ; implicit-def: $vgpr56_vgpr57
                                        ; implicit-def: $vgpr48_vgpr49
                                        ; implicit-def: $vgpr46_vgpr47
                                        ; implicit-def: $vgpr44_vgpr45
                                        ; implicit-def: $vgpr42_vgpr43
                                        ; implicit-def: $vgpr36_vgpr37
                                        ; implicit-def: $vgpr30_vgpr31_vgpr32_vgpr33
	s_load_dwordx4 s[4:7], s[0:1], 0x38
	s_cbranch_execz .LBB75_69
; %bb.60:
	s_load_dword s16, s[0:1], 0x48
	v_cmp_eq_u32_e32 vcc, 0, v0
	v_cmp_ne_u32_e64 s[2:3], 0, v0
	s_waitcnt lgkmcnt(0)
	s_bitcmp1_b32 s16, 0
	s_cselect_b64 s[16:17], -1, 0
	s_and_b64 s[18:19], vcc, s[16:17]
	s_and_saveexec_b64 s[16:17], s[18:19]
	s_cbranch_execz .LBB75_62
; %bb.61:
	s_load_dwordx2 s[4:5], s[4:5], 0x0
	s_waitcnt lgkmcnt(0)
	v_pk_mul_f32 v[30:31], v[6:7], s[4:5] op_sel:[1,0]
	s_nop 0
	v_pk_fma_f32 v[32:33], v[6:7], s[4:5], v[30:31] op_sel:[0,0,1] op_sel_hi:[1,1,0] neg_lo:[0,0,1] neg_hi:[0,0,1]
	v_pk_fma_f32 v[6:7], v[6:7], s[4:5], v[30:31] op_sel:[0,0,1] op_sel_hi:[0,1,0]
	v_mov_b32_e32 v33, v7
	v_mov_b64_e32 v[6:7], v[32:33]
.LBB75_62:
	s_or_b64 exec, exec, s[16:17]
	v_pk_mul_f32 v[30:31], v[8:9], v[6:7] op_sel:[1,0]
	v_mov_b32_e32 v106, v27
	v_pk_fma_f32 v[32:33], v[8:9], v[6:7], v[30:31] op_sel:[0,0,1] op_sel_hi:[1,1,0] neg_lo:[0,0,1] neg_hi:[0,0,1]
	v_pk_fma_f32 v[30:31], v[8:9], v[6:7], v[30:31] op_sel:[0,0,1] op_sel_hi:[0,1,0]
	v_pk_mul_f32 v[34:35], v[30:31], v[26:27]
	v_mov_b32_e32 v33, v31
	v_mov_b32_e32 v30, v35
	v_pk_fma_f32 v[34:35], v[32:33], v[26:27], v[30:31] neg_lo:[0,0,1] neg_hi:[0,0,1]
	v_pk_mul_f32 v[36:37], v[32:33], v[106:107]
	v_mov_b32_e32 v30, v31
	v_mov_b32_e32 v104, v29
	v_pk_fma_f32 v[36:37], v[30:31], v[26:27], v[36:37]
	v_pk_mul_f32 v[42:43], v[34:35], v[104:105]
	v_pk_mul_f32 v[30:31], v[36:37], v[104:105]
	v_pk_fma_f32 v[42:43], v[36:37], v[28:29], v[42:43]
	v_mov_b32_e32 v102, v23
	v_pk_fma_f32 v[30:31], v[34:35], v[28:29], v[30:31] neg_lo:[0,0,1] neg_hi:[0,0,1]
	v_pk_mul_f32 v[44:45], v[42:43], v[102:103]
	v_mov_b32_e32 v100, v25
	v_pk_fma_f32 v[66:67], v[30:31], v[22:23], v[44:45] neg_lo:[0,0,1] neg_hi:[0,0,1]
	v_pk_mul_f32 v[44:45], v[30:31], v[102:103]
	v_mov_b32_e32 v98, v19
	v_pk_fma_f32 v[44:45], v[42:43], v[22:23], v[44:45]
	v_mov_b32_e32 v96, v21
	v_pk_mul_f32 v[46:47], v[44:45], v[100:101]
	v_mov_b32_e32 v94, v17
	v_pk_fma_f32 v[68:69], v[66:67], v[24:25], v[46:47] neg_lo:[0,0,1] neg_hi:[0,0,1]
	v_pk_mul_f32 v[46:47], v[66:67], v[100:101]
	v_mov_b32_e32 v92, v13
	v_pk_fma_f32 v[46:47], v[44:45], v[24:25], v[46:47]
	v_mov_b32_e32 v60, v3
	v_pk_mul_f32 v[48:49], v[46:47], v[98:99]
	v_mov_b32_e32 v88, v5
	v_pk_fma_f32 v[70:71], v[68:69], v[18:19], v[48:49] neg_lo:[0,0,1] neg_hi:[0,0,1]
	v_pk_mul_f32 v[48:49], v[68:69], v[98:99]
	v_mov_b32_e32 v90, v41
	v_pk_fma_f32 v[48:49], v[46:47], v[18:19], v[48:49]
	v_add_lshl_u32 v31, v39, v0, 3
	v_pk_mul_f32 v[50:51], v[48:49], v[96:97]
	v_cmp_gt_u32_e64 s[4:5], 64, v0
	v_pk_fma_f32 v[72:73], v[70:71], v[20:21], v[50:51] neg_lo:[0,0,1] neg_hi:[0,0,1]
	v_pk_mul_f32 v[50:51], v[70:71], v[96:97]
	s_nop 0
	v_pk_fma_f32 v[56:57], v[48:49], v[20:21], v[50:51]
	v_mov_b32_e32 v50, v15
	v_pk_mul_f32 v[52:53], v[56:57], v[50:51]
	v_pk_mul_f32 v[50:51], v[72:73], v[50:51]
	v_pk_fma_f32 v[74:75], v[72:73], v[14:15], v[52:53] neg_lo:[0,0,1] neg_hi:[0,0,1]
	v_pk_fma_f32 v[54:55], v[56:57], v[14:15], v[50:51]
	v_mov_b32_e32 v52, v11
	v_pk_mul_f32 v[50:51], v[54:55], v[94:95]
	s_nop 0
	v_pk_fma_f32 v[76:77], v[74:75], v[16:17], v[50:51] neg_lo:[0,0,1] neg_hi:[0,0,1]
	v_pk_mul_f32 v[50:51], v[74:75], v[94:95]
	s_nop 0
	v_pk_fma_f32 v[50:51], v[54:55], v[16:17], v[50:51]
	s_nop 0
	v_pk_mul_f32 v[58:59], v[50:51], v[52:53]
	v_pk_mul_f32 v[52:53], v[76:77], v[52:53]
	v_pk_fma_f32 v[78:79], v[76:77], v[10:11], v[58:59] neg_lo:[0,0,1] neg_hi:[0,0,1]
	v_pk_fma_f32 v[58:59], v[50:51], v[10:11], v[52:53]
	s_nop 0
	v_pk_mul_f32 v[52:53], v[58:59], v[92:93]
	s_nop 0
	v_pk_fma_f32 v[80:81], v[78:79], v[12:13], v[52:53] neg_lo:[0,0,1] neg_hi:[0,0,1]
	v_pk_mul_f32 v[52:53], v[78:79], v[92:93]
	s_nop 0
	v_pk_fma_f32 v[52:53], v[58:59], v[12:13], v[52:53]
	s_nop 0
	v_pk_mul_f32 v[62:63], v[52:53], v[60:61]
	v_pk_mul_f32 v[60:61], v[80:81], v[60:61]
	v_pk_fma_f32 v[82:83], v[80:81], v[2:3], v[62:63] neg_lo:[0,0,1] neg_hi:[0,0,1]
	v_pk_fma_f32 v[64:65], v[52:53], v[2:3], v[60:61]
	s_nop 0
	v_pk_mul_f32 v[60:61], v[64:65], v[88:89]
	s_nop 0
	v_pk_fma_f32 v[84:85], v[82:83], v[4:5], v[60:61] neg_lo:[0,0,1] neg_hi:[0,0,1]
	v_pk_mul_f32 v[60:61], v[82:83], v[88:89]
	s_nop 0
	v_pk_fma_f32 v[62:63], v[64:65], v[4:5], v[60:61]
	s_nop 0
	v_pk_mul_f32 v[60:61], v[90:91], v[62:63]
	s_nop 0
	v_pk_fma_f32 v[86:87], v[40:41], v[84:85], v[60:61] neg_lo:[0,0,1] neg_hi:[0,0,1]
	v_pk_mul_f32 v[60:61], v[90:91], v[84:85]
	s_nop 0
	v_pk_fma_f32 v[60:61], v[40:41], v[62:63], v[60:61]
	s_nop 0
	v_mov_b32_e32 v87, v60
	ds_write_b64 v31, v[86:87]
	s_waitcnt lgkmcnt(0)
	s_barrier
	s_and_saveexec_b64 s[16:17], s[4:5]
	s_cbranch_execz .LBB75_64
; %bb.63:
	v_lshlrev_b32_e32 v31, 2, v0
	v_lshrrev_b32_e32 v35, 3, v0
	v_add_lshl_u32 v31, v35, v31, 3
	ds_read2_b64 v[108:111], v31 offset1:1
	ds_read2_b64 v[112:115], v31 offset0:2 offset1:3
	s_waitcnt lgkmcnt(1)
	v_pk_mul_f32 v[116:117], v[108:109], v[110:111] op_sel:[1,0] op_sel_hi:[0,1]
	v_mul_f32_e32 v35, v108, v110
	v_add_f32_e32 v37, v116, v117
	v_fma_f32 v35, -v109, v111, v35
	s_waitcnt lgkmcnt(0)
	v_mul_f32_e32 v39, v37, v113
	v_fma_f32 v116, v112, v35, -v39
	v_mul_f32_e32 v118, v35, v113
	v_fmac_f32_e32 v118, v112, v37
	v_pk_mul_f32 v[116:117], v[116:117], v[114:115] op_sel_hi:[0,1]
	v_pk_fma_f32 v[120:121], v[114:115], v[118:119], v[116:117] op_sel:[0,0,1] op_sel_hi:[1,0,0]
	v_pk_fma_f32 v[116:117], v[114:115], v[118:119], v[116:117] op_sel:[0,0,1] op_sel_hi:[1,0,0] neg_lo:[1,0,0] neg_hi:[1,0,0]
	v_mbcnt_lo_u32_b32 v35, -1, 0
	v_mbcnt_hi_u32_b32 v35, -1, v35
	v_mov_b32_dpp v119, v117 row_shr:1 row_mask:0xf bank_mask:0xf
	v_mov_b32_dpp v118, v120 row_shr:1 row_mask:0xf bank_mask:0xf
	v_and_b32_e32 v37, 15, v35
	v_pk_mul_f32 v[122:123], v[120:121], v[118:119] op_sel_hi:[0,1]
	v_pk_fma_f32 v[124:125], v[116:117], v[118:119], v[122:123] op_sel:[1,0,1] op_sel_hi:[1,1,0]
	v_pk_fma_f32 v[118:119], v[116:117], v[118:119], v[122:123] op_sel:[1,0,1] op_sel_hi:[1,1,0] neg_lo:[0,0,1] neg_hi:[0,0,1]
	v_cmp_eq_u32_e64 s[4:5], 0, v37
	s_nop 1
	v_cndmask_b32_e64 v116, v119, v117, s[4:5]
	v_cndmask_b32_e64 v118, v124, v120, s[4:5]
	v_cmp_lt_u32_e64 s[4:5], 1, v37
	v_mov_b32_dpp v121, v116 row_shr:2 row_mask:0xf bank_mask:0xf
	v_mov_b32_dpp v120, v118 row_shr:2 row_mask:0xf bank_mask:0xf
	v_pk_mul_f32 v[122:123], v[118:119], v[120:121] op_sel_hi:[0,1]
	v_pk_fma_f32 v[124:125], v[116:117], v[120:121], v[122:123] op_sel:[0,0,1] op_sel_hi:[0,1,0]
	v_pk_fma_f32 v[120:121], v[116:117], v[120:121], v[122:123] op_sel:[0,0,1] op_sel_hi:[0,1,0] neg_lo:[0,0,1] neg_hi:[0,0,1]
	v_cndmask_b32_e64 v116, v116, v121, s[4:5]
	v_cndmask_b32_e64 v118, v118, v124, s[4:5]
	v_cmp_lt_u32_e64 s[4:5], 3, v37
	v_mov_b32_dpp v121, v116 row_shr:4 row_mask:0xf bank_mask:0xf
	v_mov_b32_dpp v120, v118 row_shr:4 row_mask:0xf bank_mask:0xf
	v_pk_mul_f32 v[122:123], v[118:119], v[120:121] op_sel_hi:[0,1]
	v_pk_fma_f32 v[124:125], v[116:117], v[120:121], v[122:123] op_sel:[0,0,1] op_sel_hi:[0,1,0]
	v_pk_fma_f32 v[120:121], v[116:117], v[120:121], v[122:123] op_sel:[0,0,1] op_sel_hi:[0,1,0] neg_lo:[0,0,1] neg_hi:[0,0,1]
	;; [unrolled: 8-line block ×3, first 2 shown]
	v_cndmask_b32_e64 v116, v116, v121, s[4:5]
	v_cndmask_b32_e64 v118, v118, v124, s[4:5]
	v_and_b32_e32 v37, 16, v35
	v_mov_b32_dpp v121, v116 row_bcast:15 row_mask:0xf bank_mask:0xf
	v_mov_b32_dpp v120, v118 row_bcast:15 row_mask:0xf bank_mask:0xf
	v_pk_mul_f32 v[122:123], v[118:119], v[120:121] op_sel_hi:[0,1]
	v_pk_fma_f32 v[124:125], v[116:117], v[120:121], v[122:123] op_sel:[0,0,1] op_sel_hi:[0,1,0]
	v_cmp_eq_u32_e64 s[4:5], 0, v37
	v_pk_fma_f32 v[120:121], v[116:117], v[120:121], v[122:123] op_sel:[0,0,1] op_sel_hi:[0,1,0] neg_lo:[0,0,1] neg_hi:[0,0,1]
	s_nop 0
	v_cndmask_b32_e64 v39, v124, v118, s[4:5]
	v_cndmask_b32_e64 v37, v121, v116, s[4:5]
	v_cmp_lt_u32_e64 s[4:5], 31, v35
	v_mov_b32_dpp v45, v39 row_bcast:31 row_mask:0xf bank_mask:0xf
	v_mov_b32_dpp v43, v37 row_bcast:31 row_mask:0xf bank_mask:0xf
	v_mul_f32_e32 v47, v37, v45
	v_mul_f32_e32 v45, v39, v45
	v_fmac_f32_e32 v47, v39, v43
	v_fma_f32 v43, v37, v43, -v45
	v_cndmask_b32_e64 v37, v37, v43, s[4:5]
	v_add_u32_e32 v43, -1, v35
	v_and_b32_e32 v45, 64, v35
	v_cndmask_b32_e64 v39, v39, v47, s[4:5]
	v_cmp_lt_i32_e64 s[4:5], v43, v45
	s_nop 1
	v_cndmask_b32_e64 v35, v43, v35, s[4:5]
	v_lshlrev_b32_e32 v35, 2, v35
	ds_bpermute_b32 v39, v35, v39
	ds_bpermute_b32 v35, v35, v37
	s_waitcnt lgkmcnt(1)
	v_mul_f32_e32 v37, v109, v39
	v_mul_f32_e32 v39, v108, v39
	s_waitcnt lgkmcnt(0)
	v_fma_f32 v37, v108, v35, -v37
	v_fmac_f32_e32 v39, v109, v35
	v_cndmask_b32_e32 v108, v37, v86, vcc
	v_cndmask_b32_e32 v109, v39, v60, vcc
	v_mul_f32_e32 v35, v111, v109
	v_mul_f32_e32 v117, v111, v108
	v_fma_f32 v116, v110, v108, -v35
	v_fmac_f32_e32 v117, v110, v109
	ds_write2_b64 v31, v[108:109], v[116:117] offset1:1
	v_mul_f32_e32 v35, v113, v117
	v_mul_f32_e32 v109, v113, v116
	v_fma_f32 v108, v112, v116, -v35
	v_fmac_f32_e32 v109, v112, v117
	v_mul_f32_e32 v35, v115, v109
	v_mul_f32_e32 v111, v115, v108
	v_fma_f32 v110, v114, v108, -v35
	v_fmac_f32_e32 v111, v114, v109
	ds_write2_b64 v31, v[108:109], v[110:111] offset0:2 offset1:3
.LBB75_64:
	s_or_b64 exec, exec, s[16:17]
	v_mov_b32_e32 v109, v60
	v_mov_b32_e32 v108, v86
	s_waitcnt lgkmcnt(0)
	s_barrier
	s_and_saveexec_b64 s[4:5], s[2:3]
	s_cbranch_execnz .LBB75_158
; %bb.65:
	s_or_b64 exec, exec, s[4:5]
	s_and_saveexec_b64 s[4:5], s[2:3]
	s_cbranch_execnz .LBB75_159
.LBB75_66:
	s_or_b64 exec, exec, s[4:5]
	s_and_saveexec_b64 s[2:3], vcc
	s_cbranch_execz .LBB75_68
.LBB75_67:
	v_mov_b32_e32 v5, 0
	ds_read_b64 v[2:3], v5 offset:2096
	s_add_u32 s4, s8, 0x400
	s_mov_b32 s8, 0
	s_addc_u32 s5, s9, 0
	s_mov_b32 s16, s8
	s_waitcnt lgkmcnt(0)
	v_readfirstlane_b32 s18, v3
	s_and_b32 s9, s18, 0xff000000
	s_and_b32 s17, s18, 0xff0000
	s_or_b64 s[16:17], s[16:17], s[8:9]
	s_and_b32 s9, s18, 0xff00
	s_or_b64 s[16:17], s[16:17], s[8:9]
	;; [unrolled: 2-line block ×3, first 2 shown]
	v_mov_b32_e32 v3, s9
	v_mov_b32_e32 v4, 2
	v_mov_b64_e32 v[8:9], s[4:5]
	;;#ASMSTART
	global_store_dwordx4 v[8:9], v[2:5] off sc1	
s_waitcnt vmcnt(0)
	;;#ASMEND
.LBB75_68:
	s_or_b64 exec, exec, s[2:3]
	v_mov_b32_e32 v63, v86
	v_mov_b32_e32 v65, v84
	;; [unrolled: 1-line block ×12, first 2 shown]
	v_mov_b64_e32 v[66:67], v[6:7]
.LBB75_69:
	s_add_u32 s2, s10, s14
	s_addc_u32 s3, s11, s15
	s_waitcnt lgkmcnt(0)
	s_mov_b64 s[4:5], -1
	s_and_b64 vcc, exec, s[12:13]
	s_barrier
	s_cbranch_vccz .LBB75_71
; %bb.70:
	v_mul_u32_u24_e32 v2, 0x78, v0
	s_movk_i32 s4, 0x78
	ds_write2_b64 v2, v[66:67], v[32:33] offset1:1
	ds_write2_b32 v2, v36, v37 offset0:5 offset1:6
	ds_write2_b32 v2, v42, v43 offset0:7 offset1:8
	;; [unrolled: 1-line block ×13, first 2 shown]
	v_mul_i32_i24_e32 v2, 0xffffff90, v0
	v_mad_u32_u24 v30, v0, s4, v2
	v_mov_b32_e32 v39, 0
	s_waitcnt lgkmcnt(0)
	s_barrier
	ds_read2st64_b64 v[2:5], v30 offset1:4
	ds_read2st64_b64 v[6:9], v30 offset0:8 offset1:12
	ds_read2st64_b64 v[10:13], v30 offset0:16 offset1:20
	;; [unrolled: 1-line block ×6, first 2 shown]
	ds_read_b64 v[30:31], v30 offset:28672
	v_lshl_add_u64 v[40:41], s[2:3], 0, v[38:39]
	s_movk_i32 s4, 0x1000
	s_waitcnt lgkmcnt(7)
	global_store_dwordx2 v38, v[2:3], s[2:3]
	global_store_dwordx2 v38, v[4:5], s[2:3] offset:2048
	v_add_co_u32_e32 v2, vcc, s4, v40
	s_movk_i32 s4, 0x2000
	s_nop 0
	v_addc_co_u32_e32 v3, vcc, 0, v41, vcc
	v_add_co_u32_e32 v4, vcc, s4, v40
	s_movk_i32 s4, 0x3000
	s_nop 0
	v_addc_co_u32_e32 v5, vcc, 0, v41, vcc
	s_waitcnt lgkmcnt(6)
	global_store_dwordx2 v[4:5], v[6:7], off offset:-4096
	global_store_dwordx2 v[2:3], v[8:9], off offset:2048
	s_waitcnt lgkmcnt(5)
	global_store_dwordx2 v[4:5], v[10:11], off
	global_store_dwordx2 v[4:5], v[12:13], off offset:2048
	v_add_co_u32_e32 v2, vcc, s4, v40
	s_movk_i32 s4, 0x4000
	s_nop 0
	v_addc_co_u32_e32 v3, vcc, 0, v41, vcc
	v_add_co_u32_e32 v4, vcc, s4, v40
	s_movk_i32 s4, 0x5000
	s_nop 0
	v_addc_co_u32_e32 v5, vcc, 0, v41, vcc
	s_waitcnt lgkmcnt(4)
	global_store_dwordx2 v[4:5], v[14:15], off offset:-4096
	global_store_dwordx2 v[2:3], v[16:17], off offset:2048
	s_waitcnt lgkmcnt(3)
	global_store_dwordx2 v[4:5], v[18:19], off
	global_store_dwordx2 v[4:5], v[20:21], off offset:2048
	v_add_co_u32_e32 v2, vcc, s4, v40
	s_mov_b64 s[4:5], 0
	s_nop 0
	v_addc_co_u32_e32 v3, vcc, 0, v41, vcc
	s_waitcnt lgkmcnt(2)
	global_store_dwordx2 v[2:3], v[22:23], off
	global_store_dwordx2 v[2:3], v[24:25], off offset:2048
	v_add_co_u32_e32 v2, vcc, 0x6000, v40
	s_nop 1
	v_addc_co_u32_e32 v3, vcc, 0, v41, vcc
	s_waitcnt lgkmcnt(1)
	global_store_dwordx2 v[2:3], v[26:27], off
	global_store_dwordx2 v[2:3], v[28:29], off offset:2048
	v_add_co_u32_e32 v2, vcc, 0x7000, v40
	s_nop 1
	v_addc_co_u32_e32 v3, vcc, 0, v41, vcc
	s_waitcnt lgkmcnt(0)
	global_store_dwordx2 v[2:3], v[30:31], off
.LBB75_71:
	s_andn2_b64 vcc, exec, s[4:5]
	s_cbranch_vccnz .LBB75_157
; %bb.72:
	s_movk_i32 s4, 0xff90
	ds_write2_b64 v1, v[66:67], v[32:33] offset1:1
	ds_write2_b32 v1, v36, v37 offset0:5 offset1:6
	ds_write2_b32 v1, v42, v43 offset0:7 offset1:8
	;; [unrolled: 1-line block ×13, first 2 shown]
	v_mad_i32_i24 v1, v0, s4, v1
	s_waitcnt lgkmcnt(0)
	s_barrier
	ds_read2st64_b64 v[6:9], v1 offset1:4
	ds_read2st64_b64 v[14:17], v1 offset0:8 offset1:12
	ds_read2st64_b64 v[10:13], v1 offset0:16 offset1:20
	;; [unrolled: 1-line block ×6, first 2 shown]
	ds_read_b64 v[30:31], v1 offset:28672
	v_mov_b32_e32 v39, 0
	v_lshl_add_u64 v[32:33], s[2:3], 0, v[38:39]
	v_cmp_gt_u32_e32 vcc, s22, v0
	s_and_saveexec_b64 s[2:3], vcc
	s_cbranch_execz .LBB75_74
; %bb.73:
	s_waitcnt lgkmcnt(7)
	global_store_dwordx2 v[32:33], v[6:7], off
.LBB75_74:
	s_or_b64 exec, exec, s[2:3]
	v_or_b32_e32 v1, 0x100, v0
	v_cmp_gt_u32_e32 vcc, s22, v1
	s_and_saveexec_b64 s[2:3], vcc
	s_cbranch_execz .LBB75_76
; %bb.75:
	s_waitcnt lgkmcnt(7)
	global_store_dwordx2 v[32:33], v[8:9], off offset:2048
.LBB75_76:
	s_or_b64 exec, exec, s[2:3]
	v_or_b32_e32 v1, 0x200, v0
	v_cmp_gt_u32_e32 vcc, s22, v1
	s_and_saveexec_b64 s[2:3], vcc
	s_cbranch_execz .LBB75_78
; %bb.77:
	v_add_co_u32_e32 v34, vcc, 0x1000, v32
	s_nop 1
	v_addc_co_u32_e32 v35, vcc, 0, v33, vcc
	s_waitcnt lgkmcnt(6)
	global_store_dwordx2 v[34:35], v[14:15], off
.LBB75_78:
	s_or_b64 exec, exec, s[2:3]
	v_or_b32_e32 v1, 0x300, v0
	v_cmp_gt_u32_e32 vcc, s22, v1
	s_and_saveexec_b64 s[2:3], vcc
	s_cbranch_execz .LBB75_80
; %bb.79:
	v_add_co_u32_e32 v34, vcc, 0x1000, v32
	s_nop 1
	v_addc_co_u32_e32 v35, vcc, 0, v33, vcc
	s_waitcnt lgkmcnt(6)
	global_store_dwordx2 v[34:35], v[16:17], off offset:2048
.LBB75_80:
	s_or_b64 exec, exec, s[2:3]
	v_or_b32_e32 v1, 0x400, v0
	v_cmp_gt_u32_e32 vcc, s22, v1
	s_and_saveexec_b64 s[2:3], vcc
	s_cbranch_execz .LBB75_82
; %bb.81:
	v_add_co_u32_e32 v34, vcc, 0x2000, v32
	s_nop 1
	v_addc_co_u32_e32 v35, vcc, 0, v33, vcc
	s_waitcnt lgkmcnt(5)
	global_store_dwordx2 v[34:35], v[10:11], off
.LBB75_82:
	s_or_b64 exec, exec, s[2:3]
	v_or_b32_e32 v1, 0x500, v0
	v_cmp_gt_u32_e32 vcc, s22, v1
	s_and_saveexec_b64 s[2:3], vcc
	s_cbranch_execz .LBB75_84
; %bb.83:
	v_add_co_u32_e32 v34, vcc, 0x2000, v32
	s_nop 1
	v_addc_co_u32_e32 v35, vcc, 0, v33, vcc
	s_waitcnt lgkmcnt(5)
	global_store_dwordx2 v[34:35], v[12:13], off offset:2048
.LBB75_84:
	;; [unrolled: 24-line block ×6, first 2 shown]
	s_or_b64 exec, exec, s[2:3]
	v_or_b32_e32 v1, 0xe00, v0
	v_cmp_gt_u32_e32 vcc, s22, v1
	s_and_saveexec_b64 s[2:3], vcc
	s_cbranch_execz .LBB75_102
; %bb.101:
	v_add_co_u32_e32 v32, vcc, 0x7000, v32
	s_nop 1
	v_addc_co_u32_e32 v33, vcc, 0, v33, vcc
	s_waitcnt lgkmcnt(0)
	global_store_dwordx2 v[32:33], v[30:31], off
.LBB75_102:
	s_or_b64 exec, exec, s[2:3]
	s_load_dword s0, s[0:1], 0x48
	s_waitcnt lgkmcnt(0)
	s_bfe_u32 s0, s0, 0x10008
	s_cmp_eq_u32 s0, 0
	s_cbranch_scc1 .LBB75_157
; %bb.103:
	s_add_u32 s0, s22, -1
	s_addc_u32 s1, s23, -1
	s_add_u32 s2, 0, 0x11108400
	s_addc_u32 s3, 0, 49
	s_add_i32 s3, s3, 0x111110e0
	s_mul_hi_u32 s9, s2, -15
	s_sub_i32 s9, s9, s2
	s_mul_i32 s10, s3, -15
	s_mul_i32 s4, s2, -15
	s_add_i32 s9, s9, s10
	s_mul_hi_u32 s5, s3, s4
	s_mul_i32 s8, s3, s4
	s_mul_i32 s11, s2, s9
	s_mul_hi_u32 s4, s2, s4
	s_mul_hi_u32 s10, s2, s9
	s_add_u32 s4, s4, s11
	s_addc_u32 s10, 0, s10
	s_add_u32 s4, s4, s8
	s_mul_hi_u32 s11, s3, s9
	s_addc_u32 s4, s10, s5
	s_addc_u32 s5, s11, 0
	s_mul_i32 s8, s3, s9
	s_add_u32 s4, s4, s8
	v_mov_b32_e32 v32, s4
	s_addc_u32 s5, 0, s5
	v_add_co_u32_e32 v32, vcc, s2, v32
	s_cmp_lg_u64 vcc, 0
	s_addc_u32 s2, s3, s5
	v_readfirstlane_b32 s5, v32
	s_mul_i32 s4, s0, s2
	s_mul_hi_u32 s8, s0, s5
	s_mul_hi_u32 s3, s0, s2
	s_add_u32 s4, s8, s4
	s_addc_u32 s3, 0, s3
	s_mul_hi_u32 s9, s1, s5
	s_mul_i32 s5, s1, s5
	s_add_u32 s4, s4, s5
	s_mul_hi_u32 s8, s1, s2
	s_addc_u32 s3, s3, s9
	s_addc_u32 s4, s8, 0
	s_mul_i32 s2, s1, s2
	s_add_u32 s2, s3, s2
	s_addc_u32 s3, 0, s4
	s_add_u32 s4, s2, 1
	s_addc_u32 s5, s3, 0
	s_add_u32 s8, s2, 2
	s_mul_i32 s10, s3, 15
	s_mul_hi_u32 s11, s2, 15
	s_addc_u32 s9, s3, 0
	s_add_i32 s11, s11, s10
	s_mul_i32 s10, s2, 15
	v_mov_b32_e32 v32, s10
	v_sub_co_u32_e32 v32, vcc, s0, v32
	s_cmp_lg_u64 vcc, 0
	s_subb_u32 s10, s1, s11
	v_subrev_co_u32_e32 v33, vcc, 15, v32
	s_cmp_lg_u64 vcc, 0
	s_subb_u32 s11, s10, 0
	v_readfirstlane_b32 s12, v33
	s_cmp_gt_u32 s12, 14
	s_cselect_b32 s12, -1, 0
	s_cmp_eq_u32 s11, 0
	s_cselect_b32 s11, s12, -1
	s_cmp_lg_u32 s11, 0
	s_cselect_b32 s4, s8, s4
	v_readfirstlane_b32 s8, v32
	s_cselect_b32 s5, s9, s5
	s_cmp_gt_u32 s8, 14
	s_cselect_b32 s8, -1, 0
	s_cmp_eq_u32 s10, 0
	s_cselect_b32 s8, s8, -1
	s_cmp_lg_u32 s8, 0
	v_mov_b32_e32 v1, v39
	s_cselect_b32 s3, s5, s3
	s_cselect_b32 s2, s4, s2
	v_cmp_eq_u64_e32 vcc, s[2:3], v[0:1]
	s_and_saveexec_b64 s[2:3], vcc
	s_cbranch_execz .LBB75_157
; %bb.104:
	v_mul_hi_u32_u24_e32 v1, 15, v0
	v_mov_b32_e32 v32, s1
	v_sub_co_u32_e32 v0, vcc, s0, v89
	s_nop 1
	v_subb_co_u32_e32 v1, vcc, v32, v1, vcc
	v_cmp_lt_i64_e32 vcc, 7, v[0:1]
	s_and_saveexec_b64 s[0:1], vcc
	s_xor_b64 s[0:1], exec, s[0:1]
	s_cbranch_execz .LBB75_130
; %bb.105:
	v_cmp_lt_i64_e32 vcc, 10, v[0:1]
	s_and_saveexec_b64 s[2:3], vcc
	s_xor_b64 s[2:3], exec, s[2:3]
	s_cbranch_execz .LBB75_119
; %bb.106:
	;; [unrolled: 5-line block ×4, first 2 shown]
	v_mov_b32_e32 v0, 0
	global_store_dwordx2 v0, v[30:31], s[6:7]
                                        ; implicit-def: $vgpr22_vgpr23_vgpr24_vgpr25
.LBB75_109:
	s_andn2_saveexec_b64 s[8:9], s[8:9]
	s_cbranch_execz .LBB75_111
; %bb.110:
	v_mov_b32_e32 v0, 0
	global_store_dwordx2 v0, v[24:25], s[6:7]
.LBB75_111:
	s_or_b64 exec, exec, s[8:9]
                                        ; implicit-def: $vgpr2_vgpr3_vgpr4_vgpr5
                                        ; implicit-def: $vgpr0_vgpr1
                                        ; implicit-def: $vgpr22_vgpr23_vgpr24_vgpr25
.LBB75_112:
	s_andn2_saveexec_b64 s[4:5], s[4:5]
	s_cbranch_execz .LBB75_118
; %bb.113:
	v_cmp_lt_i64_e32 vcc, 11, v[0:1]
	s_and_saveexec_b64 s[8:9], vcc
	s_xor_b64 s[8:9], exec, s[8:9]
	s_cbranch_execz .LBB75_115
; %bb.114:
	v_mov_b32_e32 v0, 0
	global_store_dwordx2 v0, v[22:23], s[6:7]
                                        ; implicit-def: $vgpr2_vgpr3_vgpr4_vgpr5
.LBB75_115:
	s_andn2_saveexec_b64 s[8:9], s[8:9]
	s_cbranch_execz .LBB75_117
; %bb.116:
	v_mov_b32_e32 v0, 0
	global_store_dwordx2 v0, v[4:5], s[6:7]
.LBB75_117:
	s_or_b64 exec, exec, s[8:9]
.LBB75_118:
	s_or_b64 exec, exec, s[4:5]
                                        ; implicit-def: $vgpr18_vgpr19_vgpr20_vgpr21
                                        ; implicit-def: $vgpr0_vgpr1
                                        ; implicit-def: $vgpr2_vgpr3_vgpr4_vgpr5
.LBB75_119:
	s_andn2_saveexec_b64 s[2:3], s[2:3]
	s_cbranch_execz .LBB75_129
; %bb.120:
	v_cmp_lt_i64_e32 vcc, 8, v[0:1]
	s_and_saveexec_b64 s[4:5], vcc
	s_xor_b64 s[4:5], exec, s[4:5]
	s_cbranch_execz .LBB75_126
; %bb.121:
	v_cmp_lt_i64_e32 vcc, 9, v[0:1]
	s_and_saveexec_b64 s[8:9], vcc
	s_xor_b64 s[8:9], exec, s[8:9]
	s_cbranch_execz .LBB75_123
; %bb.122:
	v_mov_b32_e32 v0, 0
	global_store_dwordx2 v0, v[2:3], s[6:7]
                                        ; implicit-def: $vgpr18_vgpr19_vgpr20_vgpr21
.LBB75_123:
	s_andn2_saveexec_b64 s[8:9], s[8:9]
	s_cbranch_execz .LBB75_125
; %bb.124:
	v_mov_b32_e32 v0, 0
	global_store_dwordx2 v0, v[20:21], s[6:7]
.LBB75_125:
	s_or_b64 exec, exec, s[8:9]
                                        ; implicit-def: $vgpr18_vgpr19_vgpr20_vgpr21
.LBB75_126:
	s_andn2_saveexec_b64 s[4:5], s[4:5]
	s_cbranch_execz .LBB75_128
; %bb.127:
	v_mov_b32_e32 v0, 0
	global_store_dwordx2 v0, v[18:19], s[6:7]
.LBB75_128:
	s_or_b64 exec, exec, s[4:5]
.LBB75_129:
	s_or_b64 exec, exec, s[2:3]
                                        ; implicit-def: $vgpr0_vgpr1
                                        ; implicit-def: $vgpr6_vgpr7_vgpr8_vgpr9
                                        ; implicit-def: $vgpr10_vgpr11_vgpr12_vgpr13
                                        ; implicit-def: $vgpr14_vgpr15_vgpr16_vgpr17
                                        ; implicit-def: $vgpr26_vgpr27_vgpr28_vgpr29
.LBB75_130:
	s_andn2_saveexec_b64 s[0:1], s[0:1]
	s_cbranch_execz .LBB75_157
; %bb.131:
	v_cmp_lt_i64_e32 vcc, 3, v[0:1]
	s_and_saveexec_b64 s[0:1], vcc
	s_xor_b64 s[0:1], exec, s[0:1]
	s_cbranch_execz .LBB75_145
; %bb.132:
	v_cmp_lt_i64_e32 vcc, 5, v[0:1]
	s_and_saveexec_b64 s[2:3], vcc
	s_xor_b64 s[2:3], exec, s[2:3]
	s_cbranch_execz .LBB75_138
; %bb.133:
	v_cmp_lt_i64_e32 vcc, 6, v[0:1]
	s_and_saveexec_b64 s[4:5], vcc
	s_xor_b64 s[4:5], exec, s[4:5]
	s_cbranch_execz .LBB75_135
; %bb.134:
	v_mov_b32_e32 v0, 0
	global_store_dwordx2 v0, v[28:29], s[6:7]
                                        ; implicit-def: $vgpr26_vgpr27_vgpr28_vgpr29
.LBB75_135:
	s_andn2_saveexec_b64 s[4:5], s[4:5]
	s_cbranch_execz .LBB75_137
; %bb.136:
	v_mov_b32_e32 v0, 0
	global_store_dwordx2 v0, v[26:27], s[6:7]
.LBB75_137:
	s_or_b64 exec, exec, s[4:5]
                                        ; implicit-def: $vgpr10_vgpr11_vgpr12_vgpr13
                                        ; implicit-def: $vgpr0_vgpr1
.LBB75_138:
	s_andn2_saveexec_b64 s[2:3], s[2:3]
	s_cbranch_execz .LBB75_144
; %bb.139:
	v_cmp_lt_i64_e32 vcc, 4, v[0:1]
	s_and_saveexec_b64 s[4:5], vcc
	s_xor_b64 s[4:5], exec, s[4:5]
	s_cbranch_execz .LBB75_141
; %bb.140:
	v_mov_b32_e32 v0, 0
	global_store_dwordx2 v0, v[12:13], s[6:7]
                                        ; implicit-def: $vgpr10_vgpr11_vgpr12_vgpr13
.LBB75_141:
	s_andn2_saveexec_b64 s[4:5], s[4:5]
	s_cbranch_execz .LBB75_143
; %bb.142:
	v_mov_b32_e32 v0, 0
	global_store_dwordx2 v0, v[10:11], s[6:7]
.LBB75_143:
	s_or_b64 exec, exec, s[4:5]
.LBB75_144:
	s_or_b64 exec, exec, s[2:3]
                                        ; implicit-def: $vgpr0_vgpr1
                                        ; implicit-def: $vgpr6_vgpr7_vgpr8_vgpr9
                                        ; implicit-def: $vgpr14_vgpr15_vgpr16_vgpr17
.LBB75_145:
	s_andn2_saveexec_b64 s[0:1], s[0:1]
	s_cbranch_execz .LBB75_157
; %bb.146:
	v_cmp_lt_i64_e32 vcc, 1, v[0:1]
	s_and_saveexec_b64 s[0:1], vcc
	s_xor_b64 s[0:1], exec, s[0:1]
	s_cbranch_execz .LBB75_152
; %bb.147:
	v_cmp_lt_i64_e32 vcc, 2, v[0:1]
	s_and_saveexec_b64 s[2:3], vcc
	s_xor_b64 s[2:3], exec, s[2:3]
	s_cbranch_execz .LBB75_149
; %bb.148:
	v_mov_b32_e32 v0, 0
	global_store_dwordx2 v0, v[16:17], s[6:7]
                                        ; implicit-def: $vgpr14_vgpr15_vgpr16_vgpr17
.LBB75_149:
	s_andn2_saveexec_b64 s[2:3], s[2:3]
	s_cbranch_execz .LBB75_151
; %bb.150:
	v_mov_b32_e32 v0, 0
	global_store_dwordx2 v0, v[14:15], s[6:7]
.LBB75_151:
	s_or_b64 exec, exec, s[2:3]
                                        ; implicit-def: $vgpr6_vgpr7_vgpr8_vgpr9
                                        ; implicit-def: $vgpr0_vgpr1
.LBB75_152:
	s_andn2_saveexec_b64 s[0:1], s[0:1]
	s_cbranch_execz .LBB75_157
; %bb.153:
	v_cmp_ne_u64_e32 vcc, 1, v[0:1]
	s_and_saveexec_b64 s[0:1], vcc
	s_xor_b64 s[0:1], exec, s[0:1]
	s_cbranch_execz .LBB75_155
; %bb.154:
	v_mov_b32_e32 v0, 0
	global_store_dwordx2 v0, v[6:7], s[6:7]
                                        ; implicit-def: $vgpr6_vgpr7_vgpr8_vgpr9
.LBB75_155:
	s_andn2_saveexec_b64 s[0:1], s[0:1]
	s_cbranch_execz .LBB75_157
; %bb.156:
	v_mov_b32_e32 v0, 0
	global_store_dwordx2 v0, v[8:9], s[6:7]
.LBB75_157:
	s_endpgm
.LBB75_158:
	v_add_u32_e32 v31, -1, v0
	v_lshrrev_b32_e32 v35, 5, v31
	v_add_lshl_u32 v31, v35, v31, 3
	ds_read_b64 v[108:109], v31
	s_or_b64 exec, exec, s[4:5]
	s_and_saveexec_b64 s[4:5], s[2:3]
	s_cbranch_execz .LBB75_66
.LBB75_159:
	s_waitcnt lgkmcnt(0)
	v_mov_b32_e32 v30, v109
	v_pk_mul_f32 v[30:31], v[30:31], v[6:7] op_sel_hi:[0,1]
	v_pk_fma_f32 v[54:55], v[108:109], v[6:7], v[30:31] op_sel:[0,0,1] op_sel_hi:[0,1,0] neg_lo:[0,0,1] neg_hi:[0,0,1]
	v_pk_fma_f32 v[6:7], v[108:109], v[6:7], v[30:31] op_sel:[0,0,1] op_sel_hi:[0,1,0]
	v_pk_mul_f32 v[30:31], v[6:7], v[8:9] op_sel:[1,0]
	s_nop 0
	v_pk_fma_f32 v[32:33], v[54:55], v[8:9], v[30:31] op_sel:[0,0,1] op_sel_hi:[0,1,0] neg_lo:[0,0,1] neg_hi:[0,0,1]
	v_pk_fma_f32 v[8:9], v[54:55], v[8:9], v[30:31] op_sel:[0,0,1] op_sel_hi:[0,1,0]
	v_mov_b32_e32 v55, v7
	v_pk_mul_f32 v[6:7], v[8:9], v[26:27]
	v_mov_b32_e32 v33, v9
	v_mov_b32_e32 v6, v7
	v_pk_fma_f32 v[34:35], v[32:33], v[26:27], v[6:7] neg_lo:[0,0,1] neg_hi:[0,0,1]
	v_pk_mul_f32 v[6:7], v[32:33], v[106:107]
	v_mov_b32_e32 v8, v9
	v_pk_fma_f32 v[36:37], v[8:9], v[26:27], v[6:7]
	v_mov_b32_e32 v6, v34
	v_mov_b32_e32 v7, v36
	v_pk_mul_f32 v[26:27], v[6:7], v[28:29]
	s_nop 0
	v_mov_b32_e32 v8, v27
	v_pk_fma_f32 v[30:31], v[6:7], v[28:29], v[8:9] neg_lo:[0,0,1] neg_hi:[0,0,1]
	v_pk_mul_f32 v[6:7], v[36:37], v[28:29]
	s_nop 0
	v_pk_fma_f32 v[42:43], v[34:35], v[104:105], v[6:7]
	v_mov_b32_e32 v6, v30
	v_mov_b32_e32 v7, v42
	v_pk_mul_f32 v[26:27], v[6:7], v[22:23]
	s_nop 0
	v_mov_b32_e32 v8, v27
	v_pk_fma_f32 v[66:67], v[6:7], v[22:23], v[8:9] neg_lo:[0,0,1] neg_hi:[0,0,1]
	v_pk_mul_f32 v[6:7], v[42:43], v[22:23]
	s_nop 0
	;; [unrolled: 9-line block ×5, first 2 shown]
	v_pk_fma_f32 v[56:57], v[70:71], v[96:97], v[6:7]
	s_nop 0
	v_pk_mul_f32 v[6:7], v[56:57], v[14:15] op_sel_hi:[0,1]
	v_pk_fma_f32 v[74:75], v[72:73], v[14:15], v[6:7] op_sel:[0,0,1] op_sel_hi:[0,1,0] neg_lo:[0,0,1] neg_hi:[0,0,1]
	v_pk_fma_f32 v[14:15], v[72:73], v[14:15], v[6:7] op_sel:[0,0,1] op_sel_hi:[0,1,0]
	v_pk_mul_f32 v[6:7], v[14:15], v[16:17]
	v_mov_b32_e32 v75, v15
	v_mov_b32_e32 v6, v7
	v_pk_fma_f32 v[76:77], v[74:75], v[16:17], v[6:7] neg_lo:[0,0,1] neg_hi:[0,0,1]
	v_mov_b32_e32 v6, v15
	v_pk_mul_f32 v[6:7], v[6:7], v[16:17]
	s_nop 0
	v_pk_fma_f32 v[50:51], v[74:75], v[94:95], v[6:7]
	s_nop 0
	v_pk_mul_f32 v[6:7], v[50:51], v[10:11] op_sel_hi:[0,1]
	v_pk_fma_f32 v[78:79], v[76:77], v[10:11], v[6:7] op_sel:[0,0,1] op_sel_hi:[0,1,0] neg_lo:[0,0,1] neg_hi:[0,0,1]
	v_pk_fma_f32 v[10:11], v[76:77], v[10:11], v[6:7] op_sel:[0,0,1] op_sel_hi:[0,1,0]
	v_pk_mul_f32 v[6:7], v[10:11], v[12:13]
	v_mov_b32_e32 v79, v11
	v_mov_b32_e32 v6, v7
	v_pk_fma_f32 v[80:81], v[78:79], v[12:13], v[6:7] neg_lo:[0,0,1] neg_hi:[0,0,1]
	v_mov_b32_e32 v6, v11
	v_pk_mul_f32 v[6:7], v[6:7], v[12:13]
	v_mov_b32_e32 v58, v11
	v_pk_fma_f32 v[52:53], v[78:79], v[92:93], v[6:7]
	s_nop 0
	v_pk_mul_f32 v[6:7], v[52:53], v[2:3] op_sel_hi:[0,1]
	v_pk_fma_f32 v[82:83], v[80:81], v[2:3], v[6:7] op_sel:[0,0,1] op_sel_hi:[0,1,0] neg_lo:[0,0,1] neg_hi:[0,0,1]
	v_pk_fma_f32 v[2:3], v[80:81], v[2:3], v[6:7] op_sel:[0,0,1] op_sel_hi:[0,1,0]
	v_pk_mul_f32 v[6:7], v[2:3], v[4:5]
	v_mov_b32_e32 v83, v3
	v_mov_b32_e32 v2, v7
	v_pk_fma_f32 v[84:85], v[82:83], v[4:5], v[2:3] neg_lo:[0,0,1] neg_hi:[0,0,1]
	v_mov_b32_e32 v2, v3
	v_pk_mul_f32 v[4:5], v[2:3], v[4:5]
	v_mul_f32_e32 v60, v90, v84
	v_pk_fma_f32 v[62:63], v[82:83], v[88:89], v[4:5]
	v_mov_b64_e32 v[6:7], v[54:55]
	v_pk_mul_f32 v[4:5], v[90:91], v[62:63]
	v_fmac_f32_e32 v60, v40, v62
	v_pk_fma_f32 v[86:87], v[40:41], v[84:85], v[4:5] neg_lo:[0,0,1] neg_hi:[0,0,1]
	v_mov_b32_e32 v54, v15
	v_mov_b32_e32 v64, v3
	s_or_b64 exec, exec, s[4:5]
	s_and_saveexec_b64 s[2:3], vcc
	s_cbranch_execnz .LBB75_67
	s_branch .LBB75_68
	.section	.rodata,"a",@progbits
	.p2align	6, 0x0
	.amdhsa_kernel _ZN7rocprim17ROCPRIM_304000_NS6detail20lookback_scan_kernelILNS1_25lookback_scan_determinismE0ELb0ENS1_19wrapped_scan_configINS0_14default_configEN3c107complexIfEEEEPKS8_PS8_St10multipliesIS8_ES8_S8_NS1_19lookback_scan_stateIS8_Lb0ELb1EEEEEvT2_T3_mT5_T4_T7_jPT6_SN_bb
		.amdhsa_group_segment_fixed_size 30720
		.amdhsa_private_segment_fixed_size 0
		.amdhsa_kernarg_size 76
		.amdhsa_user_sgpr_count 2
		.amdhsa_user_sgpr_dispatch_ptr 0
		.amdhsa_user_sgpr_queue_ptr 0
		.amdhsa_user_sgpr_kernarg_segment_ptr 1
		.amdhsa_user_sgpr_dispatch_id 0
		.amdhsa_user_sgpr_kernarg_preload_length 0
		.amdhsa_user_sgpr_kernarg_preload_offset 0
		.amdhsa_user_sgpr_private_segment_size 0
		.amdhsa_uses_dynamic_stack 0
		.amdhsa_enable_private_segment 0
		.amdhsa_system_sgpr_workgroup_id_x 1
		.amdhsa_system_sgpr_workgroup_id_y 0
		.amdhsa_system_sgpr_workgroup_id_z 0
		.amdhsa_system_sgpr_workgroup_info 0
		.amdhsa_system_vgpr_workitem_id 0
		.amdhsa_next_free_vgpr 126
		.amdhsa_next_free_sgpr 30
		.amdhsa_accum_offset 128
		.amdhsa_reserve_vcc 1
		.amdhsa_float_round_mode_32 0
		.amdhsa_float_round_mode_16_64 0
		.amdhsa_float_denorm_mode_32 3
		.amdhsa_float_denorm_mode_16_64 3
		.amdhsa_dx10_clamp 1
		.amdhsa_ieee_mode 1
		.amdhsa_fp16_overflow 0
		.amdhsa_tg_split 0
		.amdhsa_exception_fp_ieee_invalid_op 0
		.amdhsa_exception_fp_denorm_src 0
		.amdhsa_exception_fp_ieee_div_zero 0
		.amdhsa_exception_fp_ieee_overflow 0
		.amdhsa_exception_fp_ieee_underflow 0
		.amdhsa_exception_fp_ieee_inexact 0
		.amdhsa_exception_int_div_zero 0
	.end_amdhsa_kernel
	.section	.text._ZN7rocprim17ROCPRIM_304000_NS6detail20lookback_scan_kernelILNS1_25lookback_scan_determinismE0ELb0ENS1_19wrapped_scan_configINS0_14default_configEN3c107complexIfEEEEPKS8_PS8_St10multipliesIS8_ES8_S8_NS1_19lookback_scan_stateIS8_Lb0ELb1EEEEEvT2_T3_mT5_T4_T7_jPT6_SN_bb,"axG",@progbits,_ZN7rocprim17ROCPRIM_304000_NS6detail20lookback_scan_kernelILNS1_25lookback_scan_determinismE0ELb0ENS1_19wrapped_scan_configINS0_14default_configEN3c107complexIfEEEEPKS8_PS8_St10multipliesIS8_ES8_S8_NS1_19lookback_scan_stateIS8_Lb0ELb1EEEEEvT2_T3_mT5_T4_T7_jPT6_SN_bb,comdat
.Lfunc_end75:
	.size	_ZN7rocprim17ROCPRIM_304000_NS6detail20lookback_scan_kernelILNS1_25lookback_scan_determinismE0ELb0ENS1_19wrapped_scan_configINS0_14default_configEN3c107complexIfEEEEPKS8_PS8_St10multipliesIS8_ES8_S8_NS1_19lookback_scan_stateIS8_Lb0ELb1EEEEEvT2_T3_mT5_T4_T7_jPT6_SN_bb, .Lfunc_end75-_ZN7rocprim17ROCPRIM_304000_NS6detail20lookback_scan_kernelILNS1_25lookback_scan_determinismE0ELb0ENS1_19wrapped_scan_configINS0_14default_configEN3c107complexIfEEEEPKS8_PS8_St10multipliesIS8_ES8_S8_NS1_19lookback_scan_stateIS8_Lb0ELb1EEEEEvT2_T3_mT5_T4_T7_jPT6_SN_bb
                                        ; -- End function
	.section	.AMDGPU.csdata,"",@progbits
; Kernel info:
; codeLenInByte = 9812
; NumSgprs: 36
; NumVgprs: 126
; NumAgprs: 0
; TotalNumVgprs: 126
; ScratchSize: 0
; MemoryBound: 0
; FloatMode: 240
; IeeeMode: 1
; LDSByteSize: 30720 bytes/workgroup (compile time only)
; SGPRBlocks: 4
; VGPRBlocks: 15
; NumSGPRsForWavesPerEU: 36
; NumVGPRsForWavesPerEU: 126
; AccumOffset: 128
; Occupancy: 2
; WaveLimiterHint : 1
; COMPUTE_PGM_RSRC2:SCRATCH_EN: 0
; COMPUTE_PGM_RSRC2:USER_SGPR: 2
; COMPUTE_PGM_RSRC2:TRAP_HANDLER: 0
; COMPUTE_PGM_RSRC2:TGID_X_EN: 1
; COMPUTE_PGM_RSRC2:TGID_Y_EN: 0
; COMPUTE_PGM_RSRC2:TGID_Z_EN: 0
; COMPUTE_PGM_RSRC2:TIDIG_COMP_CNT: 0
; COMPUTE_PGM_RSRC3_GFX90A:ACCUM_OFFSET: 31
; COMPUTE_PGM_RSRC3_GFX90A:TG_SPLIT: 0
	.section	.text._ZN7rocprim17ROCPRIM_304000_NS6detail16transform_kernelINS1_24wrapped_transform_configINS0_14default_configEN3c107complexIfEEEES7_PS7_S9_NS0_8identityIS7_EEEEvT1_mT2_T3_,"axG",@progbits,_ZN7rocprim17ROCPRIM_304000_NS6detail16transform_kernelINS1_24wrapped_transform_configINS0_14default_configEN3c107complexIfEEEES7_PS7_S9_NS0_8identityIS7_EEEEvT1_mT2_T3_,comdat
	.protected	_ZN7rocprim17ROCPRIM_304000_NS6detail16transform_kernelINS1_24wrapped_transform_configINS0_14default_configEN3c107complexIfEEEES7_PS7_S9_NS0_8identityIS7_EEEEvT1_mT2_T3_ ; -- Begin function _ZN7rocprim17ROCPRIM_304000_NS6detail16transform_kernelINS1_24wrapped_transform_configINS0_14default_configEN3c107complexIfEEEES7_PS7_S9_NS0_8identityIS7_EEEEvT1_mT2_T3_
	.globl	_ZN7rocprim17ROCPRIM_304000_NS6detail16transform_kernelINS1_24wrapped_transform_configINS0_14default_configEN3c107complexIfEEEES7_PS7_S9_NS0_8identityIS7_EEEEvT1_mT2_T3_
	.p2align	8
	.type	_ZN7rocprim17ROCPRIM_304000_NS6detail16transform_kernelINS1_24wrapped_transform_configINS0_14default_configEN3c107complexIfEEEES7_PS7_S9_NS0_8identityIS7_EEEEvT1_mT2_T3_,@function
_ZN7rocprim17ROCPRIM_304000_NS6detail16transform_kernelINS1_24wrapped_transform_configINS0_14default_configEN3c107complexIfEEEES7_PS7_S9_NS0_8identityIS7_EEEEvT1_mT2_T3_: ; @_ZN7rocprim17ROCPRIM_304000_NS6detail16transform_kernelINS1_24wrapped_transform_configINS0_14default_configEN3c107complexIfEEEES7_PS7_S9_NS0_8identityIS7_EEEEvT1_mT2_T3_
; %bb.0:
	s_load_dword s3, s[0:1], 0x20
	s_load_dwordx4 s[4:7], s[0:1], 0x0
	s_load_dwordx2 s[8:9], s[0:1], 0x10
	s_lshl_b32 s10, s2, 9
	s_mov_b32 s11, 0
	s_waitcnt lgkmcnt(0)
	s_add_i32 s3, s3, -1
	s_lshl_b64 s[0:1], s[10:11], 3
	s_add_u32 s4, s4, s0
	s_addc_u32 s5, s5, s1
	v_mov_b32_e32 v3, 0
	v_lshlrev_b32_e32 v2, 3, v0
	s_cmp_lg_u32 s2, s3
	v_lshl_add_u64 v[4:5], s[4:5], 0, v[2:3]
	s_cbranch_scc0 .LBB76_2
; %bb.1:
	global_load_dwordx2 v[8:9], v[4:5], off
	global_load_dwordx2 v[6:7], v[4:5], off offset:2048
	s_add_u32 s2, s8, s0
	s_addc_u32 s3, s9, s1
	s_waitcnt vmcnt(1)
	global_store_dwordx2 v2, v[8:9], s[2:3]
	s_mov_b64 s[2:3], -1
	s_cbranch_execz .LBB76_3
	s_branch .LBB76_10
.LBB76_2:
	s_mov_b64 s[2:3], 0
                                        ; implicit-def: $vgpr6_vgpr7
.LBB76_3:
	s_sub_i32 s5, s6, s10
	v_cmp_gt_u32_e32 vcc, s5, v0
	s_mov_b32 s4, 0
	v_mov_b32_e32 v8, 0
	v_mov_b32_e32 v9, 0
	s_and_saveexec_b64 s[2:3], vcc
	s_cbranch_execz .LBB76_5
; %bb.4:
	global_load_dwordx2 v[8:9], v[4:5], off
.LBB76_5:
	s_or_b64 exec, exec, s[2:3]
	v_or_b32_e32 v0, 0x100, v0
	v_cmp_gt_u32_e64 s[2:3], s5, v0
	s_mov_b32 s5, s4
	s_waitcnt vmcnt(1)
	v_mov_b64_e32 v[6:7], s[4:5]
	s_and_saveexec_b64 s[4:5], s[2:3]
	s_cbranch_execz .LBB76_7
; %bb.6:
	global_load_dwordx2 v[6:7], v[4:5], off offset:2048
.LBB76_7:
	s_or_b64 exec, exec, s[4:5]
	s_and_saveexec_b64 s[4:5], vcc
	s_cbranch_execz .LBB76_9
; %bb.8:
	s_add_u32 s6, s8, s0
	s_addc_u32 s7, s9, s1
	s_waitcnt vmcnt(0)
	global_store_dwordx2 v2, v[8:9], s[6:7]
.LBB76_9:
	s_or_b64 exec, exec, s[4:5]
.LBB76_10:
	s_and_saveexec_b64 s[4:5], s[2:3]
	s_cbranch_execnz .LBB76_12
; %bb.11:
	s_endpgm
.LBB76_12:
	s_add_u32 s0, s8, s0
	s_addc_u32 s1, s9, s1
	s_waitcnt vmcnt(0)
	global_store_dwordx2 v2, v[6:7], s[0:1] offset:2048
	s_endpgm
	.section	.rodata,"a",@progbits
	.p2align	6, 0x0
	.amdhsa_kernel _ZN7rocprim17ROCPRIM_304000_NS6detail16transform_kernelINS1_24wrapped_transform_configINS0_14default_configEN3c107complexIfEEEES7_PS7_S9_NS0_8identityIS7_EEEEvT1_mT2_T3_
		.amdhsa_group_segment_fixed_size 0
		.amdhsa_private_segment_fixed_size 0
		.amdhsa_kernarg_size 288
		.amdhsa_user_sgpr_count 2
		.amdhsa_user_sgpr_dispatch_ptr 0
		.amdhsa_user_sgpr_queue_ptr 0
		.amdhsa_user_sgpr_kernarg_segment_ptr 1
		.amdhsa_user_sgpr_dispatch_id 0
		.amdhsa_user_sgpr_kernarg_preload_length 0
		.amdhsa_user_sgpr_kernarg_preload_offset 0
		.amdhsa_user_sgpr_private_segment_size 0
		.amdhsa_uses_dynamic_stack 0
		.amdhsa_enable_private_segment 0
		.amdhsa_system_sgpr_workgroup_id_x 1
		.amdhsa_system_sgpr_workgroup_id_y 0
		.amdhsa_system_sgpr_workgroup_id_z 0
		.amdhsa_system_sgpr_workgroup_info 0
		.amdhsa_system_vgpr_workitem_id 0
		.amdhsa_next_free_vgpr 10
		.amdhsa_next_free_sgpr 12
		.amdhsa_accum_offset 12
		.amdhsa_reserve_vcc 1
		.amdhsa_float_round_mode_32 0
		.amdhsa_float_round_mode_16_64 0
		.amdhsa_float_denorm_mode_32 3
		.amdhsa_float_denorm_mode_16_64 3
		.amdhsa_dx10_clamp 1
		.amdhsa_ieee_mode 1
		.amdhsa_fp16_overflow 0
		.amdhsa_tg_split 0
		.amdhsa_exception_fp_ieee_invalid_op 0
		.amdhsa_exception_fp_denorm_src 0
		.amdhsa_exception_fp_ieee_div_zero 0
		.amdhsa_exception_fp_ieee_overflow 0
		.amdhsa_exception_fp_ieee_underflow 0
		.amdhsa_exception_fp_ieee_inexact 0
		.amdhsa_exception_int_div_zero 0
	.end_amdhsa_kernel
	.section	.text._ZN7rocprim17ROCPRIM_304000_NS6detail16transform_kernelINS1_24wrapped_transform_configINS0_14default_configEN3c107complexIfEEEES7_PS7_S9_NS0_8identityIS7_EEEEvT1_mT2_T3_,"axG",@progbits,_ZN7rocprim17ROCPRIM_304000_NS6detail16transform_kernelINS1_24wrapped_transform_configINS0_14default_configEN3c107complexIfEEEES7_PS7_S9_NS0_8identityIS7_EEEEvT1_mT2_T3_,comdat
.Lfunc_end76:
	.size	_ZN7rocprim17ROCPRIM_304000_NS6detail16transform_kernelINS1_24wrapped_transform_configINS0_14default_configEN3c107complexIfEEEES7_PS7_S9_NS0_8identityIS7_EEEEvT1_mT2_T3_, .Lfunc_end76-_ZN7rocprim17ROCPRIM_304000_NS6detail16transform_kernelINS1_24wrapped_transform_configINS0_14default_configEN3c107complexIfEEEES7_PS7_S9_NS0_8identityIS7_EEEEvT1_mT2_T3_
                                        ; -- End function
	.section	.AMDGPU.csdata,"",@progbits
; Kernel info:
; codeLenInByte = 284
; NumSgprs: 18
; NumVgprs: 10
; NumAgprs: 0
; TotalNumVgprs: 10
; ScratchSize: 0
; MemoryBound: 0
; FloatMode: 240
; IeeeMode: 1
; LDSByteSize: 0 bytes/workgroup (compile time only)
; SGPRBlocks: 2
; VGPRBlocks: 1
; NumSGPRsForWavesPerEU: 18
; NumVGPRsForWavesPerEU: 10
; AccumOffset: 12
; Occupancy: 8
; WaveLimiterHint : 1
; COMPUTE_PGM_RSRC2:SCRATCH_EN: 0
; COMPUTE_PGM_RSRC2:USER_SGPR: 2
; COMPUTE_PGM_RSRC2:TRAP_HANDLER: 0
; COMPUTE_PGM_RSRC2:TGID_X_EN: 1
; COMPUTE_PGM_RSRC2:TGID_Y_EN: 0
; COMPUTE_PGM_RSRC2:TGID_Z_EN: 0
; COMPUTE_PGM_RSRC2:TIDIG_COMP_CNT: 0
; COMPUTE_PGM_RSRC3_GFX90A:ACCUM_OFFSET: 2
; COMPUTE_PGM_RSRC3_GFX90A:TG_SPLIT: 0
	.section	.text._ZN7rocprim17ROCPRIM_304000_NS6detail18single_scan_kernelILb0ENS1_19wrapped_scan_configINS0_14default_configEN3c107complexIfEEEEPKS7_PS7_St10multipliesIS7_ES7_S7_EEvT1_mT4_T2_T3_,"axG",@progbits,_ZN7rocprim17ROCPRIM_304000_NS6detail18single_scan_kernelILb0ENS1_19wrapped_scan_configINS0_14default_configEN3c107complexIfEEEEPKS7_PS7_St10multipliesIS7_ES7_S7_EEvT1_mT4_T2_T3_,comdat
	.protected	_ZN7rocprim17ROCPRIM_304000_NS6detail18single_scan_kernelILb0ENS1_19wrapped_scan_configINS0_14default_configEN3c107complexIfEEEEPKS7_PS7_St10multipliesIS7_ES7_S7_EEvT1_mT4_T2_T3_ ; -- Begin function _ZN7rocprim17ROCPRIM_304000_NS6detail18single_scan_kernelILb0ENS1_19wrapped_scan_configINS0_14default_configEN3c107complexIfEEEEPKS7_PS7_St10multipliesIS7_ES7_S7_EEvT1_mT4_T2_T3_
	.globl	_ZN7rocprim17ROCPRIM_304000_NS6detail18single_scan_kernelILb0ENS1_19wrapped_scan_configINS0_14default_configEN3c107complexIfEEEEPKS7_PS7_St10multipliesIS7_ES7_S7_EEvT1_mT4_T2_T3_
	.p2align	8
	.type	_ZN7rocprim17ROCPRIM_304000_NS6detail18single_scan_kernelILb0ENS1_19wrapped_scan_configINS0_14default_configEN3c107complexIfEEEEPKS7_PS7_St10multipliesIS7_ES7_S7_EEvT1_mT4_T2_T3_,@function
_ZN7rocprim17ROCPRIM_304000_NS6detail18single_scan_kernelILb0ENS1_19wrapped_scan_configINS0_14default_configEN3c107complexIfEEEEPKS7_PS7_St10multipliesIS7_ES7_S7_EEvT1_mT4_T2_T3_: ; @_ZN7rocprim17ROCPRIM_304000_NS6detail18single_scan_kernelILb0ENS1_19wrapped_scan_configINS0_14default_configEN3c107complexIfEEEEPKS7_PS7_St10multipliesIS7_ES7_S7_EEvT1_mT4_T2_T3_
; %bb.0:
	s_load_dwordx4 s[28:31], s[0:1], 0x0
	v_mov_b32_e32 v31, 0
	v_lshlrev_b32_e32 v30, 3, v0
	s_waitcnt lgkmcnt(0)
	s_load_dwordx2 s[34:35], s[28:29], 0x0
	v_lshl_add_u64 v[4:5], s[28:29], 0, v[30:31]
	v_cmp_gt_u32_e64 s[10:11], s30, v0
	s_waitcnt lgkmcnt(0)
	v_mov_b64_e32 v[2:3], s[34:35]
	s_and_saveexec_b64 s[2:3], s[10:11]
	s_cbranch_execz .LBB77_2
; %bb.1:
	global_load_dwordx2 v[2:3], v[4:5], off
.LBB77_2:
	s_or_b64 exec, exec, s[2:3]
	v_or_b32_e32 v1, 0x100, v0
	v_cmp_gt_u32_e64 s[2:3], s30, v1
	v_mov_b64_e32 v[6:7], s[34:35]
	s_and_saveexec_b64 s[4:5], s[2:3]
	s_cbranch_execz .LBB77_4
; %bb.3:
	global_load_dwordx2 v[6:7], v[4:5], off offset:2048
.LBB77_4:
	s_or_b64 exec, exec, s[4:5]
	v_or_b32_e32 v1, 0x200, v0
	v_cmp_gt_u32_e64 s[4:5], s30, v1
	v_mov_b64_e32 v[8:9], s[34:35]
	s_and_saveexec_b64 s[6:7], s[4:5]
	s_cbranch_execz .LBB77_6
; %bb.5:
	v_add_co_u32_e32 v8, vcc, 0x1000, v4
	s_nop 1
	v_addc_co_u32_e32 v9, vcc, 0, v5, vcc
	global_load_dwordx2 v[8:9], v[8:9], off
.LBB77_6:
	s_or_b64 exec, exec, s[6:7]
	v_or_b32_e32 v1, 0x300, v0
	v_cmp_gt_u32_e64 s[6:7], s30, v1
	v_mov_b64_e32 v[10:11], s[34:35]
	s_and_saveexec_b64 s[8:9], s[6:7]
	s_cbranch_execz .LBB77_8
; %bb.7:
	v_add_co_u32_e32 v10, vcc, 0x1000, v4
	s_nop 1
	v_addc_co_u32_e32 v11, vcc, 0, v5, vcc
	global_load_dwordx2 v[10:11], v[10:11], off offset:2048
.LBB77_8:
	s_or_b64 exec, exec, s[8:9]
	v_or_b32_e32 v1, 0x400, v0
	v_cmp_gt_u32_e64 s[8:9], s30, v1
	v_mov_b64_e32 v[12:13], s[34:35]
	s_and_saveexec_b64 s[12:13], s[8:9]
	s_cbranch_execz .LBB77_10
; %bb.9:
	v_add_co_u32_e32 v12, vcc, 0x2000, v4
	s_nop 1
	v_addc_co_u32_e32 v13, vcc, 0, v5, vcc
	global_load_dwordx2 v[12:13], v[12:13], off
.LBB77_10:
	s_or_b64 exec, exec, s[12:13]
	v_or_b32_e32 v1, 0x500, v0
	v_cmp_gt_u32_e64 s[12:13], s30, v1
	v_mov_b64_e32 v[14:15], s[34:35]
	s_and_saveexec_b64 s[14:15], s[12:13]
	s_cbranch_execz .LBB77_12
; %bb.11:
	v_add_co_u32_e32 v14, vcc, 0x2000, v4
	s_nop 1
	v_addc_co_u32_e32 v15, vcc, 0, v5, vcc
	global_load_dwordx2 v[14:15], v[14:15], off offset:2048
.LBB77_12:
	;; [unrolled: 24-line block ×6, first 2 shown]
	s_or_b64 exec, exec, s[36:37]
	v_or_b32_e32 v1, 0xe00, v0
	v_cmp_gt_u32_e64 s[30:31], s30, v1
	v_mov_b64_e32 v[34:35], s[34:35]
	s_and_saveexec_b64 s[34:35], s[30:31]
	s_cbranch_execz .LBB77_30
; %bb.29:
	v_add_co_u32_e32 v4, vcc, 0x7000, v4
	s_nop 1
	v_addc_co_u32_e32 v5, vcc, 0, v5, vcc
	global_load_dwordx2 v[34:35], v[4:5], off
.LBB77_30:
	s_or_b64 exec, exec, s[34:35]
	s_movk_i32 s33, 0x70
	v_mad_u32_u24 v51, v0, s33, v30
	s_waitcnt vmcnt(0)
	ds_write2st64_b64 v30, v[2:3], v[6:7] offset1:4
	ds_write2st64_b64 v30, v[8:9], v[10:11] offset0:8 offset1:12
	ds_write2st64_b64 v30, v[12:13], v[14:15] offset0:16 offset1:20
	;; [unrolled: 1-line block ×6, first 2 shown]
	ds_write_b64 v30, v[34:35] offset:28672
	s_waitcnt lgkmcnt(0)
	s_barrier
	ds_read2_b64 v[2:5], v51 offset1:1
	ds_read2_b64 v[26:29], v51 offset0:2 offset1:3
	ds_read2_b64 v[22:25], v51 offset0:4 offset1:5
	;; [unrolled: 1-line block ×6, first 2 shown]
	ds_read_b64 v[60:61], v51 offset:112
	s_waitcnt lgkmcnt(7)
	v_mul_f32_e32 v32, v5, v2
	v_mul_f32_e32 v1, v5, v3
	v_fmac_f32_e32 v32, v4, v3
	v_fma_f32 v53, v4, v2, -v1
	s_waitcnt lgkmcnt(6)
	v_mul_f32_e32 v1, v27, v32
	v_fma_f32 v1, v26, v53, -v1
	v_mul_f32_e32 v34, v27, v53
	v_fmac_f32_e32 v34, v26, v32
	v_mul_f32_e32 v36, v29, v1
	v_mul_f32_e32 v31, v29, v34
	v_fmac_f32_e32 v36, v28, v34
	v_fma_f32 v31, v28, v1, -v31
	s_waitcnt lgkmcnt(5)
	v_mul_f32_e32 v33, v23, v36
	v_fma_f32 v33, v22, v31, -v33
	v_mul_f32_e32 v38, v23, v31
	v_fmac_f32_e32 v38, v22, v36
	;; [unrolled: 9-line block ×6, first 2 shown]
	v_mul_f32_e32 v56, v9, v49
	v_mul_f32_e32 v55, v9, v54
	v_fmac_f32_e32 v56, v8, v54
	v_fma_f32 v62, v8, v49, -v55
	s_waitcnt lgkmcnt(0)
	v_pk_mul_f32 v[58:59], v[60:61], v[56:57] op_sel_hi:[1,0]
	v_lshrrev_b32_e32 v55, 2, v0
	v_pk_fma_f32 v[64:65], v[60:61], v[62:63], v[58:59] op_sel:[0,0,1] op_sel_hi:[1,0,0] neg_lo:[0,0,1] neg_hi:[0,0,1]
	v_pk_fma_f32 v[58:59], v[60:61], v[62:63], v[58:59] op_sel:[0,0,1] op_sel_hi:[1,0,0]
	v_and_b32_e32 v55, 56, v55
	v_mov_b32_e32 v65, v59
	v_add_u32_e32 v55, v30, v55
	v_cmp_gt_u32_e32 vcc, 64, v0
	s_barrier
	ds_write_b64 v55, v[64:65]
	s_waitcnt lgkmcnt(0)
	s_barrier
	s_and_saveexec_b64 s[34:35], vcc
	s_cbranch_execz .LBB77_32
; %bb.31:
	v_lshlrev_b32_e32 v55, 2, v0
	v_lshrrev_b32_e32 v57, 3, v0
	v_add_lshl_u32 v55, v57, v55, 3
	ds_read2_b64 v[66:69], v55 offset1:1
	ds_read2_b64 v[70:73], v55 offset0:2 offset1:3
	s_waitcnt lgkmcnt(1)
	v_pk_mul_f32 v[74:75], v[66:67], v[68:69] op_sel:[1,0] op_sel_hi:[0,1]
	v_mul_f32_e32 v57, v66, v68
	v_add_f32_e32 v63, v74, v75
	v_fma_f32 v57, -v67, v69, v57
	s_waitcnt lgkmcnt(0)
	v_mul_f32_e32 v58, v63, v71
	v_fma_f32 v58, v70, v57, -v58
	v_mul_f32_e32 v74, v57, v71
	v_fmac_f32_e32 v74, v70, v63
	v_pk_mul_f32 v[76:77], v[58:59], v[72:73] op_sel_hi:[0,1]
	v_pk_fma_f32 v[78:79], v[72:73], v[74:75], v[76:77] op_sel:[0,0,1] op_sel_hi:[1,0,0]
	v_pk_fma_f32 v[74:75], v[72:73], v[74:75], v[76:77] op_sel:[0,0,1] op_sel_hi:[1,0,0] neg_lo:[1,0,0] neg_hi:[1,0,0]
	v_mbcnt_lo_u32_b32 v57, -1, 0
	v_mbcnt_hi_u32_b32 v57, -1, v57
	v_mov_b32_dpp v77, v75 row_shr:1 row_mask:0xf bank_mask:0xf
	v_mov_b32_dpp v76, v78 row_shr:1 row_mask:0xf bank_mask:0xf
	v_and_b32_e32 v63, 15, v57
	v_pk_mul_f32 v[80:81], v[78:79], v[76:77] op_sel_hi:[0,1]
	v_pk_fma_f32 v[82:83], v[74:75], v[76:77], v[80:81] op_sel:[1,0,1] op_sel_hi:[1,1,0]
	v_pk_fma_f32 v[76:77], v[74:75], v[76:77], v[80:81] op_sel:[1,0,1] op_sel_hi:[1,1,0] neg_lo:[0,0,1] neg_hi:[0,0,1]
	v_cmp_eq_u32_e32 vcc, 0, v63
	s_nop 1
	v_cndmask_b32_e32 v58, v77, v75, vcc
	v_cndmask_b32_e32 v74, v82, v78, vcc
	v_cmp_lt_u32_e32 vcc, 1, v63
	v_mov_b32_dpp v77, v58 row_shr:2 row_mask:0xf bank_mask:0xf
	v_mov_b32_dpp v76, v74 row_shr:2 row_mask:0xf bank_mask:0xf
	v_pk_mul_f32 v[78:79], v[74:75], v[76:77] op_sel_hi:[0,1]
	v_pk_fma_f32 v[80:81], v[58:59], v[76:77], v[78:79] op_sel:[0,0,1] op_sel_hi:[0,1,0]
	v_pk_fma_f32 v[76:77], v[58:59], v[76:77], v[78:79] op_sel:[0,0,1] op_sel_hi:[0,1,0] neg_lo:[0,0,1] neg_hi:[0,0,1]
	v_cndmask_b32_e32 v58, v58, v77, vcc
	v_cndmask_b32_e32 v74, v74, v80, vcc
	v_cmp_lt_u32_e32 vcc, 3, v63
	v_mov_b32_dpp v77, v58 row_shr:4 row_mask:0xf bank_mask:0xf
	v_mov_b32_dpp v76, v74 row_shr:4 row_mask:0xf bank_mask:0xf
	v_pk_mul_f32 v[78:79], v[74:75], v[76:77] op_sel_hi:[0,1]
	v_pk_fma_f32 v[80:81], v[58:59], v[76:77], v[78:79] op_sel:[0,0,1] op_sel_hi:[0,1,0]
	v_pk_fma_f32 v[76:77], v[58:59], v[76:77], v[78:79] op_sel:[0,0,1] op_sel_hi:[0,1,0] neg_lo:[0,0,1] neg_hi:[0,0,1]
	;; [unrolled: 8-line block ×3, first 2 shown]
	v_cndmask_b32_e32 v58, v58, v77, vcc
	v_cndmask_b32_e32 v74, v74, v80, vcc
	v_and_b32_e32 v63, 16, v57
	v_mov_b32_dpp v77, v58 row_bcast:15 row_mask:0xf bank_mask:0xf
	v_mov_b32_dpp v76, v74 row_bcast:15 row_mask:0xf bank_mask:0xf
	v_pk_mul_f32 v[78:79], v[74:75], v[76:77] op_sel_hi:[0,1]
	v_pk_fma_f32 v[80:81], v[58:59], v[76:77], v[78:79] op_sel:[0,0,1] op_sel_hi:[0,1,0]
	v_cmp_eq_u32_e32 vcc, 0, v63
	v_pk_fma_f32 v[76:77], v[58:59], v[76:77], v[78:79] op_sel:[0,0,1] op_sel_hi:[0,1,0] neg_lo:[0,0,1] neg_hi:[0,0,1]
	s_nop 0
	v_cndmask_b32_e32 v63, v80, v74, vcc
	v_cndmask_b32_e32 v58, v77, v58, vcc
	v_cmp_lt_u32_e32 vcc, 31, v57
	v_mov_b32_dpp v75, v63 row_bcast:31 row_mask:0xf bank_mask:0xf
	v_mov_b32_dpp v74, v58 row_bcast:31 row_mask:0xf bank_mask:0xf
	v_mul_f32_e32 v76, v58, v75
	v_mul_f32_e32 v75, v63, v75
	v_fmac_f32_e32 v76, v63, v74
	v_fma_f32 v74, v58, v74, -v75
	v_cndmask_b32_e32 v58, v58, v74, vcc
	v_add_u32_e32 v74, -1, v57
	v_and_b32_e32 v75, 64, v57
	v_cndmask_b32_e32 v63, v63, v76, vcc
	v_cmp_lt_i32_e32 vcc, v74, v75
	s_nop 1
	v_cndmask_b32_e32 v57, v74, v57, vcc
	v_lshlrev_b32_e32 v57, 2, v57
	ds_bpermute_b32 v63, v57, v63
	ds_bpermute_b32 v57, v57, v58
	v_cmp_eq_u32_e32 vcc, 0, v0
	s_waitcnt lgkmcnt(1)
	v_mul_f32_e32 v58, v67, v63
	v_mul_f32_e32 v63, v66, v63
	s_waitcnt lgkmcnt(0)
	v_fma_f32 v58, v66, v57, -v58
	v_fmac_f32_e32 v63, v67, v57
	v_cndmask_b32_e32 v66, v58, v64, vcc
	v_cndmask_b32_e32 v67, v63, v59, vcc
	v_mul_f32_e32 v57, v69, v67
	v_mul_f32_e32 v75, v69, v66
	v_fma_f32 v74, v68, v66, -v57
	v_fmac_f32_e32 v75, v68, v67
	ds_write2_b64 v55, v[66:67], v[74:75] offset1:1
	v_mul_f32_e32 v57, v71, v75
	v_mul_f32_e32 v67, v71, v74
	v_fma_f32 v66, v70, v74, -v57
	v_fmac_f32_e32 v67, v70, v75
	v_mul_f32_e32 v57, v73, v67
	v_mul_f32_e32 v69, v73, v66
	v_fma_f32 v68, v72, v66, -v57
	v_fmac_f32_e32 v69, v72, v67
	ds_write2_b64 v55, v[66:67], v[68:69] offset0:2 offset1:3
.LBB77_32:
	s_or_b64 exec, exec, s[34:35]
	v_cmp_ne_u32_e32 vcc, 0, v0
	v_mov_b32_e32 v70, v64
	s_waitcnt lgkmcnt(0)
	s_barrier
	s_and_saveexec_b64 s[34:35], vcc
	s_cbranch_execz .LBB77_34
; %bb.33:
	v_add_u32_e32 v55, -1, v0
	v_lshrrev_b32_e32 v57, 5, v55
	v_add_lshl_u32 v55, v57, v55, 3
	ds_read_b64 v[70:71], v55
	s_waitcnt lgkmcnt(0)
	v_mov_b32_e32 v65, v71
.LBB77_34:
	s_or_b64 exec, exec, s[34:35]
	s_and_saveexec_b64 s[34:35], vcc
	s_xor_b64 s[34:35], exec, s[34:35]
                                        ; implicit-def: $vgpr68_vgpr69
                                        ; implicit-def: $vgpr66_vgpr67
	s_cbranch_execz .LBB77_36
; %bb.35:
	v_mov_b32_e32 v71, v65
	v_pk_mul_f32 v[32:33], v[70:71], v[2:3] op_sel:[0,1]
                                        ; implicit-def: $vgpr64_vgpr65
	s_nop 0
	v_pk_fma_f32 v[62:63], v[70:71], v[2:3], v[32:33] op_sel:[0,0,1] op_sel_hi:[1,0,0] neg_lo:[0,0,1] neg_hi:[0,0,1]
	v_pk_fma_f32 v[2:3], v[70:71], v[2:3], v[32:33] op_sel:[0,0,1] op_sel_hi:[1,0,0]
	s_nop 0
	v_mul_f32_e32 v1, v5, v3
	v_mul_f32_e32 v32, v4, v3
	v_fma_f32 v53, v4, v62, -v1
	v_fmac_f32_e32 v32, v5, v62
	v_mul_f32_e32 v34, v27, v53
	v_mul_f32_e32 v1, v27, v32
	v_fmac_f32_e32 v34, v26, v32
	v_fma_f32 v1, v26, v53, -v1
	v_mul_f32_e32 v36, v28, v34
	v_mul_f32_e32 v2, v29, v34
	v_fmac_f32_e32 v36, v29, v1
	v_fma_f32 v31, v28, v1, -v2
	;; [unrolled: 4-line block ×11, first 2 shown]
	v_mul_f32_e32 v56, v8, v54
	v_mul_f32_e32 v2, v9, v54
	v_fmac_f32_e32 v56, v9, v49
	v_mov_b32_e32 v63, v3
	v_fma_f32 v67, v8, v49, -v2
	v_mul_f32_e32 v2, v61, v56
	v_mul_f32_e32 v59, v60, v56
	v_fma_f32 v69, v60, v67, -v2
	v_fmac_f32_e32 v59, v61, v67
	v_mov_b64_e32 v[2:3], v[62:63]
                                        ; implicit-def: $vgpr62
	s_andn2_saveexec_b64 s[34:35], s[34:35]
	s_cbranch_execnz .LBB77_37
	s_branch .LBB77_38
.LBB77_36:
	s_andn2_saveexec_b64 s[34:35], s[34:35]
.LBB77_37:
	v_mov_b32_e32 v67, v62
	v_mov_b32_e32 v69, v64
.LBB77_38:
	s_or_b64 exec, exec, s[34:35]
	s_movk_i32 s33, 0xff90
	v_mad_i32_i24 v24, v0, s33, v51
	s_barrier
	ds_write_b64 v51, v[2:3]
	ds_write2_b32 v51, v32, v1 offset0:3 offset1:4
	ds_write2_b32 v51, v34, v31 offset0:5 offset1:6
	;; [unrolled: 1-line block ×14, first 2 shown]
	s_waitcnt lgkmcnt(0)
	s_barrier
	ds_read2st64_b64 v[20:23], v24 offset0:4 offset1:8
	ds_read2st64_b64 v[16:19], v24 offset0:12 offset1:20
	;; [unrolled: 1-line block ×6, first 2 shown]
	ds_read_b64 v[28:29], v30 offset:24576
	ds_read_b64 v[24:25], v24 offset:28672
	s_load_dwordx2 s[0:1], s[0:1], 0x18
	v_mov_b32_e32 v31, 0
	s_waitcnt lgkmcnt(0)
	v_lshl_add_u64 v[26:27], s[0:1], 0, v[30:31]
	s_and_saveexec_b64 s[0:1], s[10:11]
	s_cbranch_execz .LBB77_54
; %bb.39:
	ds_read_b64 v[30:31], v30
	s_waitcnt lgkmcnt(0)
	global_store_dwordx2 v[26:27], v[30:31], off
	s_or_b64 exec, exec, s[0:1]
	s_and_saveexec_b64 s[0:1], s[2:3]
	s_cbranch_execnz .LBB77_55
.LBB77_40:
	s_or_b64 exec, exec, s[0:1]
	s_and_saveexec_b64 s[0:1], s[4:5]
	s_cbranch_execz .LBB77_56
.LBB77_41:
	v_add_co_u32_e32 v20, vcc, 0x1000, v26
	s_nop 1
	v_addc_co_u32_e32 v21, vcc, 0, v27, vcc
	global_store_dwordx2 v[20:21], v[22:23], off
	s_or_b64 exec, exec, s[0:1]
	s_and_saveexec_b64 s[0:1], s[6:7]
	s_cbranch_execnz .LBB77_57
.LBB77_42:
	s_or_b64 exec, exec, s[0:1]
	s_and_saveexec_b64 s[0:1], s[8:9]
	s_cbranch_execz .LBB77_58
.LBB77_43:
	v_add_co_u32_e32 v16, vcc, 0x2000, v26
	s_nop 1
	v_addc_co_u32_e32 v17, vcc, 0, v27, vcc
	global_store_dwordx2 v[16:17], v[8:9], off
	s_or_b64 exec, exec, s[0:1]
	s_and_saveexec_b64 s[0:1], s[12:13]
	s_cbranch_execnz .LBB77_59
.LBB77_44:
	s_or_b64 exec, exec, s[0:1]
	s_and_saveexec_b64 s[0:1], s[14:15]
	s_cbranch_execz .LBB77_60
.LBB77_45:
	v_add_co_u32_e32 v8, vcc, 0x3000, v26
	s_nop 1
	v_addc_co_u32_e32 v9, vcc, 0, v27, vcc
	global_store_dwordx2 v[8:9], v[12:13], off
	s_or_b64 exec, exec, s[0:1]
	s_and_saveexec_b64 s[0:1], s[16:17]
	s_cbranch_execnz .LBB77_61
.LBB77_46:
	s_or_b64 exec, exec, s[0:1]
	s_and_saveexec_b64 s[0:1], s[18:19]
	s_cbranch_execz .LBB77_62
.LBB77_47:
	v_add_co_u32_e32 v8, vcc, 0x4000, v26
	s_nop 1
	v_addc_co_u32_e32 v9, vcc, 0, v27, vcc
	global_store_dwordx2 v[8:9], v[10:11], off
	s_or_b64 exec, exec, s[0:1]
	s_and_saveexec_b64 s[0:1], s[20:21]
	s_cbranch_execnz .LBB77_63
.LBB77_48:
	s_or_b64 exec, exec, s[0:1]
	s_and_saveexec_b64 s[0:1], s[22:23]
	s_cbranch_execz .LBB77_64
.LBB77_49:
	v_add_co_u32_e32 v4, vcc, 0x5000, v26
	s_nop 1
	v_addc_co_u32_e32 v5, vcc, 0, v27, vcc
	global_store_dwordx2 v[4:5], v[6:7], off
	s_or_b64 exec, exec, s[0:1]
	s_and_saveexec_b64 s[0:1], s[24:25]
	s_cbranch_execnz .LBB77_65
.LBB77_50:
	s_or_b64 exec, exec, s[0:1]
	s_and_saveexec_b64 s[0:1], s[26:27]
	s_cbranch_execz .LBB77_66
.LBB77_51:
	v_add_co_u32_e32 v0, vcc, 0x6000, v26
	s_nop 1
	v_addc_co_u32_e32 v1, vcc, 0, v27, vcc
	global_store_dwordx2 v[0:1], v[28:29], off
	s_or_b64 exec, exec, s[0:1]
	s_and_saveexec_b64 s[0:1], s[28:29]
	s_cbranch_execnz .LBB77_67
.LBB77_52:
	s_or_b64 exec, exec, s[0:1]
	s_and_saveexec_b64 s[0:1], s[30:31]
	s_cbranch_execz .LBB77_68
.LBB77_53:
	v_add_co_u32_e32 v0, vcc, 0x7000, v26
	s_nop 1
	v_addc_co_u32_e32 v1, vcc, 0, v27, vcc
	global_store_dwordx2 v[0:1], v[24:25], off
	s_endpgm
.LBB77_54:
	s_or_b64 exec, exec, s[0:1]
	s_and_saveexec_b64 s[0:1], s[2:3]
	s_cbranch_execz .LBB77_40
.LBB77_55:
	global_store_dwordx2 v[26:27], v[20:21], off offset:2048
	s_or_b64 exec, exec, s[0:1]
	s_and_saveexec_b64 s[0:1], s[4:5]
	s_cbranch_execnz .LBB77_41
.LBB77_56:
	s_or_b64 exec, exec, s[0:1]
	s_and_saveexec_b64 s[0:1], s[6:7]
	s_cbranch_execz .LBB77_42
.LBB77_57:
	v_add_co_u32_e32 v20, vcc, 0x1000, v26
	s_nop 1
	v_addc_co_u32_e32 v21, vcc, 0, v27, vcc
	global_store_dwordx2 v[20:21], v[16:17], off offset:2048
	s_or_b64 exec, exec, s[0:1]
	s_and_saveexec_b64 s[0:1], s[8:9]
	s_cbranch_execnz .LBB77_43
.LBB77_58:
	s_or_b64 exec, exec, s[0:1]
	s_and_saveexec_b64 s[0:1], s[12:13]
	s_cbranch_execz .LBB77_44
.LBB77_59:
	v_add_co_u32_e32 v8, vcc, 0x2000, v26
	s_nop 1
	v_addc_co_u32_e32 v9, vcc, 0, v27, vcc
	global_store_dwordx2 v[8:9], v[18:19], off offset:2048
	s_or_b64 exec, exec, s[0:1]
	s_and_saveexec_b64 s[0:1], s[14:15]
	s_cbranch_execnz .LBB77_45
.LBB77_60:
	s_or_b64 exec, exec, s[0:1]
	s_and_saveexec_b64 s[0:1], s[16:17]
	s_cbranch_execz .LBB77_46
.LBB77_61:
	v_add_co_u32_e32 v8, vcc, 0x3000, v26
	s_nop 1
	v_addc_co_u32_e32 v9, vcc, 0, v27, vcc
	global_store_dwordx2 v[8:9], v[14:15], off offset:2048
	s_or_b64 exec, exec, s[0:1]
	s_and_saveexec_b64 s[0:1], s[18:19]
	s_cbranch_execnz .LBB77_47
.LBB77_62:
	s_or_b64 exec, exec, s[0:1]
	s_and_saveexec_b64 s[0:1], s[20:21]
	s_cbranch_execz .LBB77_48
.LBB77_63:
	v_add_co_u32_e32 v8, vcc, 0x4000, v26
	s_nop 1
	v_addc_co_u32_e32 v9, vcc, 0, v27, vcc
	global_store_dwordx2 v[8:9], v[4:5], off offset:2048
	s_or_b64 exec, exec, s[0:1]
	s_and_saveexec_b64 s[0:1], s[22:23]
	s_cbranch_execnz .LBB77_49
.LBB77_64:
	s_or_b64 exec, exec, s[0:1]
	s_and_saveexec_b64 s[0:1], s[24:25]
	s_cbranch_execz .LBB77_50
.LBB77_65:
	v_add_co_u32_e32 v4, vcc, 0x5000, v26
	s_nop 1
	v_addc_co_u32_e32 v5, vcc, 0, v27, vcc
	global_store_dwordx2 v[4:5], v[0:1], off offset:2048
	s_or_b64 exec, exec, s[0:1]
	s_and_saveexec_b64 s[0:1], s[26:27]
	s_cbranch_execnz .LBB77_51
.LBB77_66:
	s_or_b64 exec, exec, s[0:1]
	s_and_saveexec_b64 s[0:1], s[28:29]
	s_cbranch_execz .LBB77_52
.LBB77_67:
	v_add_co_u32_e32 v0, vcc, 0x6000, v26
	s_nop 1
	v_addc_co_u32_e32 v1, vcc, 0, v27, vcc
	global_store_dwordx2 v[0:1], v[2:3], off offset:2048
	s_or_b64 exec, exec, s[0:1]
	s_and_saveexec_b64 s[0:1], s[30:31]
	s_cbranch_execnz .LBB77_53
.LBB77_68:
	s_endpgm
	.section	.rodata,"a",@progbits
	.p2align	6, 0x0
	.amdhsa_kernel _ZN7rocprim17ROCPRIM_304000_NS6detail18single_scan_kernelILb0ENS1_19wrapped_scan_configINS0_14default_configEN3c107complexIfEEEEPKS7_PS7_St10multipliesIS7_ES7_S7_EEvT1_mT4_T2_T3_
		.amdhsa_group_segment_fixed_size 30720
		.amdhsa_private_segment_fixed_size 0
		.amdhsa_kernarg_size 36
		.amdhsa_user_sgpr_count 2
		.amdhsa_user_sgpr_dispatch_ptr 0
		.amdhsa_user_sgpr_queue_ptr 0
		.amdhsa_user_sgpr_kernarg_segment_ptr 1
		.amdhsa_user_sgpr_dispatch_id 0
		.amdhsa_user_sgpr_kernarg_preload_length 0
		.amdhsa_user_sgpr_kernarg_preload_offset 0
		.amdhsa_user_sgpr_private_segment_size 0
		.amdhsa_uses_dynamic_stack 0
		.amdhsa_enable_private_segment 0
		.amdhsa_system_sgpr_workgroup_id_x 1
		.amdhsa_system_sgpr_workgroup_id_y 0
		.amdhsa_system_sgpr_workgroup_id_z 0
		.amdhsa_system_sgpr_workgroup_info 0
		.amdhsa_system_vgpr_workitem_id 0
		.amdhsa_next_free_vgpr 84
		.amdhsa_next_free_sgpr 38
		.amdhsa_accum_offset 84
		.amdhsa_reserve_vcc 1
		.amdhsa_float_round_mode_32 0
		.amdhsa_float_round_mode_16_64 0
		.amdhsa_float_denorm_mode_32 3
		.amdhsa_float_denorm_mode_16_64 3
		.amdhsa_dx10_clamp 1
		.amdhsa_ieee_mode 1
		.amdhsa_fp16_overflow 0
		.amdhsa_tg_split 0
		.amdhsa_exception_fp_ieee_invalid_op 0
		.amdhsa_exception_fp_denorm_src 0
		.amdhsa_exception_fp_ieee_div_zero 0
		.amdhsa_exception_fp_ieee_overflow 0
		.amdhsa_exception_fp_ieee_underflow 0
		.amdhsa_exception_fp_ieee_inexact 0
		.amdhsa_exception_int_div_zero 0
	.end_amdhsa_kernel
	.section	.text._ZN7rocprim17ROCPRIM_304000_NS6detail18single_scan_kernelILb0ENS1_19wrapped_scan_configINS0_14default_configEN3c107complexIfEEEEPKS7_PS7_St10multipliesIS7_ES7_S7_EEvT1_mT4_T2_T3_,"axG",@progbits,_ZN7rocprim17ROCPRIM_304000_NS6detail18single_scan_kernelILb0ENS1_19wrapped_scan_configINS0_14default_configEN3c107complexIfEEEEPKS7_PS7_St10multipliesIS7_ES7_S7_EEvT1_mT4_T2_T3_,comdat
.Lfunc_end77:
	.size	_ZN7rocprim17ROCPRIM_304000_NS6detail18single_scan_kernelILb0ENS1_19wrapped_scan_configINS0_14default_configEN3c107complexIfEEEEPKS7_PS7_St10multipliesIS7_ES7_S7_EEvT1_mT4_T2_T3_, .Lfunc_end77-_ZN7rocprim17ROCPRIM_304000_NS6detail18single_scan_kernelILb0ENS1_19wrapped_scan_configINS0_14default_configEN3c107complexIfEEEEPKS7_PS7_St10multipliesIS7_ES7_S7_EEvT1_mT4_T2_T3_
                                        ; -- End function
	.section	.AMDGPU.csdata,"",@progbits
; Kernel info:
; codeLenInByte = 3312
; NumSgprs: 44
; NumVgprs: 84
; NumAgprs: 0
; TotalNumVgprs: 84
; ScratchSize: 0
; MemoryBound: 0
; FloatMode: 240
; IeeeMode: 1
; LDSByteSize: 30720 bytes/workgroup (compile time only)
; SGPRBlocks: 5
; VGPRBlocks: 10
; NumSGPRsForWavesPerEU: 44
; NumVGPRsForWavesPerEU: 84
; AccumOffset: 84
; Occupancy: 2
; WaveLimiterHint : 0
; COMPUTE_PGM_RSRC2:SCRATCH_EN: 0
; COMPUTE_PGM_RSRC2:USER_SGPR: 2
; COMPUTE_PGM_RSRC2:TRAP_HANDLER: 0
; COMPUTE_PGM_RSRC2:TGID_X_EN: 1
; COMPUTE_PGM_RSRC2:TGID_Y_EN: 0
; COMPUTE_PGM_RSRC2:TGID_Z_EN: 0
; COMPUTE_PGM_RSRC2:TIDIG_COMP_CNT: 0
; COMPUTE_PGM_RSRC3_GFX90A:ACCUM_OFFSET: 20
; COMPUTE_PGM_RSRC3_GFX90A:TG_SPLIT: 0
	.section	.text._ZN2at6native32tensor_kernel_scan_innermost_dimIN3c107complexIfEESt10multipliesIS4_EEEvPT_PKS7_jjjS7_T0_,"axG",@progbits,_ZN2at6native32tensor_kernel_scan_innermost_dimIN3c107complexIfEESt10multipliesIS4_EEEvPT_PKS7_jjjS7_T0_,comdat
	.protected	_ZN2at6native32tensor_kernel_scan_innermost_dimIN3c107complexIfEESt10multipliesIS4_EEEvPT_PKS7_jjjS7_T0_ ; -- Begin function _ZN2at6native32tensor_kernel_scan_innermost_dimIN3c107complexIfEESt10multipliesIS4_EEEvPT_PKS7_jjjS7_T0_
	.globl	_ZN2at6native32tensor_kernel_scan_innermost_dimIN3c107complexIfEESt10multipliesIS4_EEEvPT_PKS7_jjjS7_T0_
	.p2align	8
	.type	_ZN2at6native32tensor_kernel_scan_innermost_dimIN3c107complexIfEESt10multipliesIS4_EEEvPT_PKS7_jjjS7_T0_,@function
_ZN2at6native32tensor_kernel_scan_innermost_dimIN3c107complexIfEESt10multipliesIS4_EEEvPT_PKS7_jjjS7_T0_: ; @_ZN2at6native32tensor_kernel_scan_innermost_dimIN3c107complexIfEESt10multipliesIS4_EEEvPT_PKS7_jjjS7_T0_
; %bb.0:
	s_load_dwordx8 s[12:19], s[0:1], 0x0
	s_load_dwordx2 s[20:21], s[0:1], 0x20
	v_bfe_u32 v2, v0, 10, 10
	s_waitcnt lgkmcnt(0)
	s_lshl_b32 s3, 2, s18
	v_mul_lo_u32 v1, s3, v2
	s_mul_hi_u32 s4, s16, s17
	s_mov_b32 s22, s16
	v_lshl_add_u32 v16, v1, 3, 0
	s_cmp_lg_u32 s4, 0
	s_mov_b64 s[4:5], -1
	s_cbranch_scc1 .LBB78_26
; %bb.1:
	s_load_dword s6, s[0:1], 0x3c
	s_add_u32 s4, s0, 48
	s_addc_u32 s5, s1, 0
	s_waitcnt lgkmcnt(0)
	s_lshr_b32 s6, s6, 16
	s_mul_i32 s19, s2, s6
	s_cmp_ge_u32 s19, s16
	s_cbranch_scc1 .LBB78_25
; %bb.2:
	s_load_dword s28, s[4:5], 0x0
	s_lshl_b32 s23, 1, s18
	s_cmp_lg_u32 s17, 0
	v_and_b32_e32 v1, 0x3ff, v0
	s_cselect_b64 s[4:5], -1, 0
	v_lshl_add_u32 v3, v1, 3, v16
	s_lshl_b32 s7, s3, 3
	v_cndmask_b32_e64 v4, 0, 1, s[4:5]
	v_lshl_add_u32 v17, s23, 3, v3
	v_cmp_eq_u32_e64 s[8:9], 0, v1
	v_add3_u32 v18, v16, s7, -8
	s_waitcnt lgkmcnt(0)
	s_mul_i32 s28, s28, s6
	s_add_i32 s29, s18, 1
	v_cmp_ne_u32_e64 s[4:5], 1, v4
	v_mov_b32_e32 v5, 0
	s_branch .LBB78_4
.LBB78_3:                               ;   in Loop: Header=BB78_4 Depth=1
	s_add_i32 s19, s19, s28
	s_cmp_ge_u32 s19, s16
	s_cbranch_scc1 .LBB78_25
.LBB78_4:                               ; =>This Loop Header: Depth=1
                                        ;     Child Loop BB78_7 Depth 2
                                        ;       Child Loop BB78_16 Depth 3
	s_and_b64 vcc, exec, s[4:5]
	s_cbranch_vccnz .LBB78_3
; %bb.5:                                ;   in Loop: Header=BB78_4 Depth=1
	v_add_u32_e32 v10, s19, v2
	v_mul_lo_u32 v4, v10, s17
	v_lshlrev_b64 v[8:9], 3, v[4:5]
	v_lshl_add_u64 v[6:7], s[14:15], 0, v[8:9]
	v_lshl_add_u64 v[8:9], s[12:13], 0, v[8:9]
	v_cmp_gt_u32_e32 vcc, s16, v10
	v_cmp_le_u32_e64 s[6:7], s16, v10
	s_mov_b32 s30, 0
	v_mov_b64_e32 v[12:13], s[20:21]
	s_branch .LBB78_7
.LBB78_6:                               ;   in Loop: Header=BB78_7 Depth=2
	s_or_b64 exec, exec, s[24:25]
	ds_read_b64 v[12:13], v18
	s_add_i32 s30, s30, s3
	s_cmp_ge_u32 s30, s17
	s_waitcnt lgkmcnt(0)
	s_barrier
	s_cbranch_scc1 .LBB78_3
.LBB78_7:                               ;   Parent Loop BB78_4 Depth=1
                                        ; =>  This Loop Header: Depth=2
                                        ;       Child Loop BB78_16 Depth 3
	v_add_u32_e32 v4, s30, v1
	v_add_u32_e32 v10, s23, v4
	s_and_saveexec_b64 s[24:25], vcc
	s_cbranch_execz .LBB78_14
; %bb.8:                                ;   in Loop: Header=BB78_7 Depth=2
	v_cmp_gt_u32_e64 s[10:11], s17, v4
	v_mov_b64_e32 v[14:15], s[20:21]
	s_and_saveexec_b64 s[26:27], s[10:11]
	s_cbranch_execz .LBB78_10
; %bb.9:                                ;   in Loop: Header=BB78_7 Depth=2
	v_lshl_add_u64 v[14:15], v[4:5], 3, v[6:7]
	global_load_dwordx2 v[14:15], v[14:15], off
.LBB78_10:                              ;   in Loop: Header=BB78_7 Depth=2
	s_or_b64 exec, exec, s[26:27]
	s_waitcnt vmcnt(0)
	ds_write_b64 v3, v[14:15]
	v_cmp_gt_u32_e64 s[10:11], s17, v10
	v_mov_b64_e32 v[14:15], s[20:21]
	s_and_saveexec_b64 s[26:27], s[10:11]
	s_cbranch_execz .LBB78_12
; %bb.11:                               ;   in Loop: Header=BB78_7 Depth=2
	v_mov_b32_e32 v11, v5
	v_lshl_add_u64 v[14:15], v[10:11], 3, v[6:7]
	global_load_dwordx2 v[14:15], v[14:15], off
.LBB78_12:                              ;   in Loop: Header=BB78_7 Depth=2
	s_or_b64 exec, exec, s[26:27]
	s_waitcnt vmcnt(0)
	ds_write_b64 v17, v[14:15]
	s_and_b64 exec, exec, s[8:9]
	s_cbranch_execz .LBB78_14
; %bb.13:                               ;   in Loop: Header=BB78_7 Depth=2
	ds_read_b64 v[14:15], v16
	s_waitcnt lgkmcnt(0)
	v_pk_mul_f32 v[20:21], v[14:15], v[12:13] op_sel:[1,0]
	s_nop 0
	v_pk_fma_f32 v[22:23], v[14:15], v[12:13], v[20:21] op_sel:[0,0,1] op_sel_hi:[1,1,0] neg_lo:[0,0,1] neg_hi:[0,0,1]
	v_pk_fma_f32 v[12:13], v[14:15], v[12:13], v[20:21] op_sel:[0,0,1] op_sel_hi:[0,1,0]
	v_mov_b32_e32 v23, v13
	ds_write_b64 v16, v[22:23]
.LBB78_14:                              ;   in Loop: Header=BB78_7 Depth=2
	s_or_b64 exec, exec, s[24:25]
	s_mov_b64 s[24:25], 0
	v_mov_b32_e32 v11, 0
	s_waitcnt lgkmcnt(0)
	s_barrier
	s_branch .LBB78_16
.LBB78_15:                              ;   in Loop: Header=BB78_16 Depth=3
	s_or_b64 exec, exec, s[10:11]
	v_cmp_eq_u32_e64 s[10:11], s29, v11
	s_or_b64 s[24:25], s[10:11], s[24:25]
	s_waitcnt lgkmcnt(0)
	s_barrier
	s_andn2_b64 exec, exec, s[24:25]
	s_cbranch_execz .LBB78_20
.LBB78_16:                              ;   Parent Loop BB78_4 Depth=1
                                        ;     Parent Loop BB78_7 Depth=2
                                        ; =>    This Inner Loop Header: Depth=3
	v_add_u32_e32 v12, 1, v11
	s_and_saveexec_b64 s[10:11], s[6:7]
	s_xor_b64 s[10:11], exec, s[10:11]
; %bb.17:                               ;   in Loop: Header=BB78_16 Depth=3
	v_add_u32_e32 v11, 1, v11
                                        ; implicit-def: $vgpr12
; %bb.18:                               ;   in Loop: Header=BB78_16 Depth=3
	s_andn2_saveexec_b64 s[10:11], s[10:11]
	s_cbranch_execz .LBB78_15
; %bb.19:                               ;   in Loop: Header=BB78_16 Depth=3
	v_lshlrev_b32_e64 v13, v11, 1
	v_lshrrev_b32_e32 v14, v11, v1
	v_lshl_or_b32 v13, v14, v12, v13
	v_bfm_b32 v11, v11, 0
	v_and_b32_e32 v11, v11, v1
	v_lshl_add_u32 v13, v13, 3, v16
	v_lshl_add_u32 v11, v11, 3, v13
	v_add_u32_e32 v13, -8, v13
	ds_read_b64 v[14:15], v11
	ds_read_b64 v[20:21], v13
	s_waitcnt lgkmcnt(0)
	v_mul_f32_e32 v13, v21, v15
	v_mul_f32_e32 v23, v20, v15
	v_fma_f32 v22, v20, v14, -v13
	v_fmac_f32_e32 v23, v21, v14
	ds_write_b64 v11, v[22:23]
	v_mov_b32_e32 v11, v12
	s_branch .LBB78_15
.LBB78_20:                              ;   in Loop: Header=BB78_7 Depth=2
	s_or_b64 exec, exec, s[24:25]
	s_and_saveexec_b64 s[24:25], vcc
	s_cbranch_execz .LBB78_6
; %bb.21:                               ;   in Loop: Header=BB78_7 Depth=2
	v_cmp_gt_u32_e64 s[10:11], s17, v4
	s_and_saveexec_b64 s[26:27], s[10:11]
	s_cbranch_execz .LBB78_23
; %bb.22:                               ;   in Loop: Header=BB78_7 Depth=2
	ds_read_b64 v[12:13], v3
	v_lshl_add_u64 v[14:15], v[4:5], 3, v[8:9]
	s_waitcnt lgkmcnt(0)
	global_store_dwordx2 v[14:15], v[12:13], off
.LBB78_23:                              ;   in Loop: Header=BB78_7 Depth=2
	s_or_b64 exec, exec, s[26:27]
	v_cmp_gt_u32_e64 s[10:11], s17, v10
	s_and_b64 exec, exec, s[10:11]
	s_cbranch_execz .LBB78_6
; %bb.24:                               ;   in Loop: Header=BB78_7 Depth=2
	ds_read_b64 v[12:13], v17
	v_mov_b32_e32 v11, v5
	v_lshl_add_u64 v[10:11], v[10:11], 3, v[8:9]
	s_waitcnt lgkmcnt(0)
	global_store_dwordx2 v[10:11], v[12:13], off
	s_branch .LBB78_6
.LBB78_25:
	s_mov_b64 s[4:5], 0
.LBB78_26:
	s_andn2_b64 vcc, exec, s[4:5]
	s_cbranch_vccnz .LBB78_53
; %bb.27:
	s_load_dword s3, s[0:1], 0x3c
	s_add_u32 s4, s0, 48
	s_mov_b32 s23, 0
	s_addc_u32 s5, s1, 0
	v_mov_b64_e32 v[4:5], s[22:23]
	s_waitcnt lgkmcnt(0)
	s_lshr_b32 s0, s3, 16
	s_mul_hi_u32 s9, s0, s2
	s_mul_i32 s8, s0, s2
	v_cmp_ge_u64_e32 vcc, s[8:9], v[4:5]
	s_cbranch_vccnz .LBB78_53
; %bb.28:
	s_lshl_b32 s10, 1, s18
	s_load_dword s4, s[4:5], 0x0
	s_and_b32 s6, 0xffff, s0
	s_ashr_i32 s11, s10, 31
	s_cmp_lg_u32 s17, 0
	s_mov_b32 s24, s17
	v_and_b32_e32 v0, 0x3ff, v0
	s_cselect_b64 s[2:3], -1, 0
	s_lshl_b64 s[16:17], s[10:11], 1
	v_mov_b32_e32 v3, 0
	v_lshl_add_u32 v17, v0, 3, v16
	s_lshl_b32 s5, s16, 3
	v_cndmask_b32_e64 v4, 0, 1, s[2:3]
	s_mov_b32 s25, s23
	v_mov_b32_e32 v1, v3
	v_lshl_add_u32 v18, s10, 3, v17
	v_cmp_eq_u32_e64 s[0:1], 0, v0
	v_add3_u32 v19, v16, s5, -8
	s_waitcnt lgkmcnt(0)
	s_mul_i32 s33, s4, s6
	s_add_i32 s34, s18, 1
	v_cmp_ne_u32_e64 s[2:3], 1, v4
	s_branch .LBB78_30
.LBB78_29:                              ;   in Loop: Header=BB78_30 Depth=1
	s_add_u32 s8, s8, s33
	s_addc_u32 s9, s9, 0
	v_mov_b64_e32 v[4:5], s[22:23]
	v_cmp_ge_u64_e32 vcc, s[8:9], v[4:5]
	s_cbranch_vccnz .LBB78_53
.LBB78_30:                              ; =>This Loop Header: Depth=1
                                        ;     Child Loop BB78_33 Depth 2
                                        ;       Child Loop BB78_43 Depth 3
	s_and_b64 vcc, exec, s[2:3]
	s_cbranch_vccnz .LBB78_29
; %bb.31:                               ;   in Loop: Header=BB78_30 Depth=1
	v_lshl_add_u64 v[8:9], s[8:9], 0, v[2:3]
	v_mad_u64_u32 v[4:5], s[4:5], v8, s24, 0
	v_mov_b32_e32 v6, v5
	v_mad_u64_u32 v[6:7], s[4:5], v9, s24, v[6:7]
	v_mov_b32_e32 v5, v6
	v_lshlrev_b64 v[6:7], 3, v[4:5]
	v_lshl_add_u64 v[4:5], s[14:15], 0, v[6:7]
	v_lshl_add_u64 v[6:7], s[12:13], 0, v[6:7]
	v_cmp_gt_u64_e64 s[4:5], s[22:23], v[8:9]
	v_cmp_le_u64_e64 s[6:7], s[22:23], v[8:9]
	s_mov_b64 s[18:19], 0
	v_mov_b64_e32 v[12:13], s[20:21]
	s_branch .LBB78_33
.LBB78_32:                              ;   in Loop: Header=BB78_33 Depth=2
	s_or_b64 exec, exec, s[26:27]
	ds_read_b64 v[12:13], v19
	s_add_u32 s18, s18, s16
	s_addc_u32 s19, s19, s17
	v_mov_b64_e32 v[8:9], s[24:25]
	v_cmp_ge_u64_e32 vcc, s[18:19], v[8:9]
	s_waitcnt lgkmcnt(0)
	s_barrier
	s_cbranch_vccnz .LBB78_29
.LBB78_33:                              ;   Parent Loop BB78_30 Depth=1
                                        ; =>  This Loop Header: Depth=2
                                        ;       Child Loop BB78_43 Depth 3
	v_lshl_add_u64 v[10:11], s[18:19], 0, v[0:1]
	v_lshl_add_u64 v[8:9], v[10:11], 0, s[10:11]
	s_and_saveexec_b64 s[26:27], s[4:5]
	s_cbranch_execz .LBB78_40
; %bb.34:                               ;   in Loop: Header=BB78_33 Depth=2
	v_cmp_gt_u64_e32 vcc, s[24:25], v[10:11]
	v_mov_b64_e32 v[14:15], s[20:21]
	s_and_saveexec_b64 s[28:29], vcc
	s_cbranch_execz .LBB78_36
; %bb.35:                               ;   in Loop: Header=BB78_33 Depth=2
	v_lshl_add_u64 v[14:15], v[10:11], 3, v[4:5]
	global_load_dwordx2 v[14:15], v[14:15], off
.LBB78_36:                              ;   in Loop: Header=BB78_33 Depth=2
	s_or_b64 exec, exec, s[28:29]
	s_waitcnt vmcnt(0)
	ds_write_b64 v17, v[14:15]
	v_cmp_gt_u64_e32 vcc, s[24:25], v[8:9]
	v_mov_b64_e32 v[14:15], s[20:21]
	s_and_saveexec_b64 s[28:29], vcc
	s_cbranch_execz .LBB78_38
; %bb.37:                               ;   in Loop: Header=BB78_33 Depth=2
	v_lshl_add_u64 v[14:15], v[8:9], 3, v[4:5]
	global_load_dwordx2 v[14:15], v[14:15], off
.LBB78_38:                              ;   in Loop: Header=BB78_33 Depth=2
	s_or_b64 exec, exec, s[28:29]
	s_waitcnt vmcnt(0)
	ds_write_b64 v18, v[14:15]
	s_and_b64 exec, exec, s[0:1]
	s_cbranch_execz .LBB78_40
; %bb.39:                               ;   in Loop: Header=BB78_33 Depth=2
	ds_read_b64 v[14:15], v16
	s_waitcnt lgkmcnt(0)
	v_pk_mul_f32 v[20:21], v[14:15], v[12:13] op_sel:[1,0]
	s_nop 0
	v_pk_fma_f32 v[22:23], v[14:15], v[12:13], v[20:21] op_sel:[0,0,1] op_sel_hi:[1,1,0] neg_lo:[0,0,1] neg_hi:[0,0,1]
	v_pk_fma_f32 v[12:13], v[14:15], v[12:13], v[20:21] op_sel:[0,0,1] op_sel_hi:[0,1,0]
	v_mov_b32_e32 v23, v13
	ds_write_b64 v16, v[22:23]
.LBB78_40:                              ;   in Loop: Header=BB78_33 Depth=2
	s_or_b64 exec, exec, s[26:27]
	s_mov_b64 s[26:27], 0
	v_mov_b32_e32 v21, 0
	s_waitcnt lgkmcnt(0)
	s_barrier
	s_branch .LBB78_43
.LBB78_41:                              ;   in Loop: Header=BB78_43 Depth=3
	s_or_b64 exec, exec, s[30:31]
	v_lshrrev_b32_e32 v13, v21, v0
	v_lshl_or_b32 v12, v13, v20, v12
	v_lshl_add_u32 v12, v12, 3, v16
	v_lshl_add_u32 v21, v14, 3, v12
	v_add_u32_e32 v14, -8, v12
	ds_read_b64 v[12:13], v21
	ds_read_b64 v[14:15], v14
	s_waitcnt lgkmcnt(0)
	v_mul_f32_e32 v22, v15, v13
	v_mul_f32_e32 v23, v14, v13
	v_fma_f32 v22, v14, v12, -v22
	v_fmac_f32_e32 v23, v15, v12
	ds_write_b64 v21, v[22:23]
.LBB78_42:                              ;   in Loop: Header=BB78_43 Depth=3
	s_or_b64 exec, exec, s[28:29]
	v_cmp_eq_u32_e32 vcc, s34, v20
	s_or_b64 s[26:27], vcc, s[26:27]
	v_mov_b32_e32 v21, v20
	s_waitcnt lgkmcnt(0)
	s_barrier
	s_andn2_b64 exec, exec, s[26:27]
	s_cbranch_execz .LBB78_48
.LBB78_43:                              ;   Parent Loop BB78_30 Depth=1
                                        ;     Parent Loop BB78_33 Depth=2
                                        ; =>    This Inner Loop Header: Depth=3
	v_add_u32_e32 v20, 1, v21
	s_and_saveexec_b64 s[28:29], s[6:7]
	s_xor_b64 s[28:29], exec, s[28:29]
; %bb.44:                               ;   in Loop: Header=BB78_43 Depth=3
	v_add_u32_e32 v20, 1, v21
                                        ; implicit-def: $vgpr21
; %bb.45:                               ;   in Loop: Header=BB78_43 Depth=3
	s_andn2_saveexec_b64 s[28:29], s[28:29]
	s_cbranch_execz .LBB78_42
; %bb.46:                               ;   in Loop: Header=BB78_43 Depth=3
	v_lshlrev_b32_e64 v12, v21, 1
	v_ashrrev_i32_e32 v13, 31, v12
	v_cmp_ge_u64_e32 vcc, v[0:1], v[12:13]
	v_mov_b64_e32 v[14:15], v[0:1]
	s_and_saveexec_b64 s[30:31], vcc
	s_cbranch_execz .LBB78_41
; %bb.47:                               ;   in Loop: Header=BB78_43 Depth=3
	v_cvt_f32_u32_e32 v13, v12
	v_sub_u32_e32 v14, 0, v12
	v_rcp_iflag_f32_e32 v13, v13
	s_nop 0
	v_mul_f32_e32 v13, 0x4f7ffffe, v13
	v_cvt_u32_f32_e32 v13, v13
	v_mul_lo_u32 v14, v14, v13
	v_mul_hi_u32 v14, v13, v14
	v_add_u32_e32 v13, v13, v14
	v_mul_hi_u32 v13, v0, v13
	v_mul_lo_u32 v13, v13, v12
	v_sub_u32_e32 v13, v0, v13
	v_sub_u32_e32 v14, v13, v12
	v_cmp_ge_u32_e32 vcc, v13, v12
	s_nop 1
	v_cndmask_b32_e32 v13, v13, v14, vcc
	v_sub_u32_e32 v14, v13, v12
	v_cmp_ge_u32_e32 vcc, v13, v12
	s_nop 1
	v_cndmask_b32_e32 v14, v13, v14, vcc
	s_branch .LBB78_41
.LBB78_48:                              ;   in Loop: Header=BB78_33 Depth=2
	s_or_b64 exec, exec, s[26:27]
	s_and_saveexec_b64 s[26:27], s[4:5]
	s_cbranch_execz .LBB78_32
; %bb.49:                               ;   in Loop: Header=BB78_33 Depth=2
	v_cmp_gt_u64_e32 vcc, s[24:25], v[10:11]
	s_and_saveexec_b64 s[28:29], vcc
	s_cbranch_execz .LBB78_51
; %bb.50:                               ;   in Loop: Header=BB78_33 Depth=2
	ds_read_b64 v[12:13], v17
	v_lshl_add_u64 v[10:11], v[10:11], 3, v[6:7]
	s_waitcnt lgkmcnt(0)
	global_store_dwordx2 v[10:11], v[12:13], off
.LBB78_51:                              ;   in Loop: Header=BB78_33 Depth=2
	s_or_b64 exec, exec, s[28:29]
	v_cmp_gt_u64_e32 vcc, s[24:25], v[8:9]
	s_and_b64 exec, exec, vcc
	s_cbranch_execz .LBB78_32
; %bb.52:                               ;   in Loop: Header=BB78_33 Depth=2
	ds_read_b64 v[10:11], v18
	v_lshl_add_u64 v[8:9], v[8:9], 3, v[6:7]
	s_waitcnt lgkmcnt(0)
	global_store_dwordx2 v[8:9], v[10:11], off
	s_branch .LBB78_32
.LBB78_53:
	s_endpgm
	.section	.rodata,"a",@progbits
	.p2align	6, 0x0
	.amdhsa_kernel _ZN2at6native32tensor_kernel_scan_innermost_dimIN3c107complexIfEESt10multipliesIS4_EEEvPT_PKS7_jjjS7_T0_
		.amdhsa_group_segment_fixed_size 0
		.amdhsa_private_segment_fixed_size 0
		.amdhsa_kernarg_size 304
		.amdhsa_user_sgpr_count 2
		.amdhsa_user_sgpr_dispatch_ptr 0
		.amdhsa_user_sgpr_queue_ptr 0
		.amdhsa_user_sgpr_kernarg_segment_ptr 1
		.amdhsa_user_sgpr_dispatch_id 0
		.amdhsa_user_sgpr_kernarg_preload_length 0
		.amdhsa_user_sgpr_kernarg_preload_offset 0
		.amdhsa_user_sgpr_private_segment_size 0
		.amdhsa_uses_dynamic_stack 0
		.amdhsa_enable_private_segment 0
		.amdhsa_system_sgpr_workgroup_id_x 1
		.amdhsa_system_sgpr_workgroup_id_y 0
		.amdhsa_system_sgpr_workgroup_id_z 0
		.amdhsa_system_sgpr_workgroup_info 0
		.amdhsa_system_vgpr_workitem_id 1
		.amdhsa_next_free_vgpr 24
		.amdhsa_next_free_sgpr 35
		.amdhsa_accum_offset 24
		.amdhsa_reserve_vcc 1
		.amdhsa_float_round_mode_32 0
		.amdhsa_float_round_mode_16_64 0
		.amdhsa_float_denorm_mode_32 3
		.amdhsa_float_denorm_mode_16_64 3
		.amdhsa_dx10_clamp 1
		.amdhsa_ieee_mode 1
		.amdhsa_fp16_overflow 0
		.amdhsa_tg_split 0
		.amdhsa_exception_fp_ieee_invalid_op 0
		.amdhsa_exception_fp_denorm_src 0
		.amdhsa_exception_fp_ieee_div_zero 0
		.amdhsa_exception_fp_ieee_overflow 0
		.amdhsa_exception_fp_ieee_underflow 0
		.amdhsa_exception_fp_ieee_inexact 0
		.amdhsa_exception_int_div_zero 0
	.end_amdhsa_kernel
	.section	.text._ZN2at6native32tensor_kernel_scan_innermost_dimIN3c107complexIfEESt10multipliesIS4_EEEvPT_PKS7_jjjS7_T0_,"axG",@progbits,_ZN2at6native32tensor_kernel_scan_innermost_dimIN3c107complexIfEESt10multipliesIS4_EEEvPT_PKS7_jjjS7_T0_,comdat
.Lfunc_end78:
	.size	_ZN2at6native32tensor_kernel_scan_innermost_dimIN3c107complexIfEESt10multipliesIS4_EEEvPT_PKS7_jjjS7_T0_, .Lfunc_end78-_ZN2at6native32tensor_kernel_scan_innermost_dimIN3c107complexIfEESt10multipliesIS4_EEEvPT_PKS7_jjjS7_T0_
                                        ; -- End function
	.section	.AMDGPU.csdata,"",@progbits
; Kernel info:
; codeLenInByte = 1720
; NumSgprs: 41
; NumVgprs: 24
; NumAgprs: 0
; TotalNumVgprs: 24
; ScratchSize: 0
; MemoryBound: 0
; FloatMode: 240
; IeeeMode: 1
; LDSByteSize: 0 bytes/workgroup (compile time only)
; SGPRBlocks: 5
; VGPRBlocks: 2
; NumSGPRsForWavesPerEU: 41
; NumVGPRsForWavesPerEU: 24
; AccumOffset: 24
; Occupancy: 8
; WaveLimiterHint : 0
; COMPUTE_PGM_RSRC2:SCRATCH_EN: 0
; COMPUTE_PGM_RSRC2:USER_SGPR: 2
; COMPUTE_PGM_RSRC2:TRAP_HANDLER: 0
; COMPUTE_PGM_RSRC2:TGID_X_EN: 1
; COMPUTE_PGM_RSRC2:TGID_Y_EN: 0
; COMPUTE_PGM_RSRC2:TGID_Z_EN: 0
; COMPUTE_PGM_RSRC2:TIDIG_COMP_CNT: 1
; COMPUTE_PGM_RSRC3_GFX90A:ACCUM_OFFSET: 5
; COMPUTE_PGM_RSRC3_GFX90A:TG_SPLIT: 0
	.section	.text._ZN2at6native28tensor_kernel_scan_outer_dimIN3c107complexIfEEjSt10multipliesIS4_EEEvPT_PKS7_jjjS7_T1_,"axG",@progbits,_ZN2at6native28tensor_kernel_scan_outer_dimIN3c107complexIfEEjSt10multipliesIS4_EEEvPT_PKS7_jjjS7_T1_,comdat
	.protected	_ZN2at6native28tensor_kernel_scan_outer_dimIN3c107complexIfEEjSt10multipliesIS4_EEEvPT_PKS7_jjjS7_T1_ ; -- Begin function _ZN2at6native28tensor_kernel_scan_outer_dimIN3c107complexIfEEjSt10multipliesIS4_EEEvPT_PKS7_jjjS7_T1_
	.globl	_ZN2at6native28tensor_kernel_scan_outer_dimIN3c107complexIfEEjSt10multipliesIS4_EEEvPT_PKS7_jjjS7_T1_
	.p2align	8
	.type	_ZN2at6native28tensor_kernel_scan_outer_dimIN3c107complexIfEEjSt10multipliesIS4_EEEvPT_PKS7_jjjS7_T1_,@function
_ZN2at6native28tensor_kernel_scan_outer_dimIN3c107complexIfEEjSt10multipliesIS4_EEEvPT_PKS7_jjjS7_T1_: ; @_ZN2at6native28tensor_kernel_scan_outer_dimIN3c107complexIfEEjSt10multipliesIS4_EEEvPT_PKS7_jjjS7_T1_
; %bb.0:
	s_load_dwordx4 s[8:11], s[0:1], 0x10
	s_waitcnt lgkmcnt(0)
	s_cmp_ge_u32 s2, s8
	s_cbranch_scc1 .LBB79_9
; %bb.1:
	s_load_dword s11, s[0:1], 0x30
	s_load_dword s4, s[0:1], 0x3c
	s_load_dwordx4 s[12:15], s[0:1], 0x0
	s_load_dwordx2 s[6:7], s[0:1], 0x20
	s_add_u32 s16, s0, 48
	s_addc_u32 s17, s1, 0
	s_waitcnt lgkmcnt(0)
	s_and_b32 s28, s4, 0xffff
	s_mul_i32 s3, s3, s28
	s_cmp_lg_u32 s10, 0
	v_add_u32_e32 v4, s3, v0
	s_mul_i32 s3, s2, s10
	s_cselect_b64 s[4:5], -1, 0
	s_mov_b32 s19, 0
	s_mov_b32 s18, s9
	s_mul_i32 s22, s3, s9
	s_mul_i32 s3, s11, s10
	v_cndmask_b32_e64 v0, 0, 1, s[4:5]
	v_cmp_gt_u32_e64 s[0:1], s9, v4
	s_mul_i32 s3, s3, s9
	s_lshl_b64 s[20:21], s[18:19], 3
	v_cmp_ne_u32_e64 s[4:5], 1, v0
	v_mov_b32_e32 v1, 0
	s_mov_b32 s18, s22
	s_branch .LBB79_3
.LBB79_2:                               ;   in Loop: Header=BB79_3 Depth=1
	s_or_b64 exec, exec, s[22:23]
	s_add_i32 s2, s11, s2
	s_add_i32 s18, s18, s3
	s_cmp_ge_u32 s2, s8
	s_cbranch_scc1 .LBB79_9
.LBB79_3:                               ; =>This Loop Header: Depth=1
                                        ;     Child Loop BB79_6 Depth 2
                                        ;       Child Loop BB79_8 Depth 3
	s_and_saveexec_b64 s[22:23], s[0:1]
	s_cbranch_execz .LBB79_2
; %bb.4:                                ;   in Loop: Header=BB79_3 Depth=1
	s_load_dword s29, s[16:17], 0x4
	s_lshl_b64 s[24:25], s[18:19], 3
	s_mov_b64 s[26:27], 0
	v_mov_b32_e32 v0, v4
	s_waitcnt lgkmcnt(0)
	s_mul_i32 s29, s29, s28
	s_branch .LBB79_6
.LBB79_5:                               ;   in Loop: Header=BB79_6 Depth=2
	v_add_u32_e32 v0, s29, v0
	v_cmp_le_u32_e32 vcc, s9, v0
	s_or_b64 s[26:27], vcc, s[26:27]
	s_andn2_b64 exec, exec, s[26:27]
	s_cbranch_execz .LBB79_2
.LBB79_6:                               ;   Parent Loop BB79_3 Depth=1
                                        ; =>  This Loop Header: Depth=2
                                        ;       Child Loop BB79_8 Depth 3
	s_and_b64 vcc, exec, s[4:5]
	s_cbranch_vccnz .LBB79_5
; %bb.7:                                ;   in Loop: Header=BB79_6 Depth=2
	v_lshl_add_u64 v[2:3], v[0:1], 3, s[24:25]
	v_mov_b32_e32 v5, s7
	v_mov_b32_e32 v6, s6
	s_mov_b32 s30, s10
.LBB79_8:                               ;   Parent Loop BB79_3 Depth=1
                                        ;     Parent Loop BB79_6 Depth=2
                                        ; =>    This Inner Loop Header: Depth=3
	v_lshl_add_u64 v[8:9], s[14:15], 0, v[2:3]
	global_load_dwordx2 v[8:9], v[8:9], off
	s_add_i32 s30, s30, -1
	v_lshl_add_u64 v[10:11], s[12:13], 0, v[2:3]
	v_lshl_add_u64 v[2:3], v[2:3], 0, s[20:21]
	s_cmp_eq_u32 s30, 0
	s_waitcnt vmcnt(0)
	v_mul_f32_e32 v7, v9, v6
	v_mul_f32_e32 v12, v9, v5
	v_fmac_f32_e32 v7, v8, v5
	v_fma_f32 v6, v8, v6, -v12
	v_mov_b32_e32 v5, v7
	global_store_dwordx2 v[10:11], v[6:7], off
	s_cbranch_scc0 .LBB79_8
	s_branch .LBB79_5
.LBB79_9:
	s_endpgm
	.section	.rodata,"a",@progbits
	.p2align	6, 0x0
	.amdhsa_kernel _ZN2at6native28tensor_kernel_scan_outer_dimIN3c107complexIfEEjSt10multipliesIS4_EEEvPT_PKS7_jjjS7_T1_
		.amdhsa_group_segment_fixed_size 0
		.amdhsa_private_segment_fixed_size 0
		.amdhsa_kernarg_size 304
		.amdhsa_user_sgpr_count 2
		.amdhsa_user_sgpr_dispatch_ptr 0
		.amdhsa_user_sgpr_queue_ptr 0
		.amdhsa_user_sgpr_kernarg_segment_ptr 1
		.amdhsa_user_sgpr_dispatch_id 0
		.amdhsa_user_sgpr_kernarg_preload_length 0
		.amdhsa_user_sgpr_kernarg_preload_offset 0
		.amdhsa_user_sgpr_private_segment_size 0
		.amdhsa_uses_dynamic_stack 0
		.amdhsa_enable_private_segment 0
		.amdhsa_system_sgpr_workgroup_id_x 1
		.amdhsa_system_sgpr_workgroup_id_y 1
		.amdhsa_system_sgpr_workgroup_id_z 0
		.amdhsa_system_sgpr_workgroup_info 0
		.amdhsa_system_vgpr_workitem_id 0
		.amdhsa_next_free_vgpr 13
		.amdhsa_next_free_sgpr 31
		.amdhsa_accum_offset 16
		.amdhsa_reserve_vcc 1
		.amdhsa_float_round_mode_32 0
		.amdhsa_float_round_mode_16_64 0
		.amdhsa_float_denorm_mode_32 3
		.amdhsa_float_denorm_mode_16_64 3
		.amdhsa_dx10_clamp 1
		.amdhsa_ieee_mode 1
		.amdhsa_fp16_overflow 0
		.amdhsa_tg_split 0
		.amdhsa_exception_fp_ieee_invalid_op 0
		.amdhsa_exception_fp_denorm_src 0
		.amdhsa_exception_fp_ieee_div_zero 0
		.amdhsa_exception_fp_ieee_overflow 0
		.amdhsa_exception_fp_ieee_underflow 0
		.amdhsa_exception_fp_ieee_inexact 0
		.amdhsa_exception_int_div_zero 0
	.end_amdhsa_kernel
	.section	.text._ZN2at6native28tensor_kernel_scan_outer_dimIN3c107complexIfEEjSt10multipliesIS4_EEEvPT_PKS7_jjjS7_T1_,"axG",@progbits,_ZN2at6native28tensor_kernel_scan_outer_dimIN3c107complexIfEEjSt10multipliesIS4_EEEvPT_PKS7_jjjS7_T1_,comdat
.Lfunc_end79:
	.size	_ZN2at6native28tensor_kernel_scan_outer_dimIN3c107complexIfEEjSt10multipliesIS4_EEEvPT_PKS7_jjjS7_T1_, .Lfunc_end79-_ZN2at6native28tensor_kernel_scan_outer_dimIN3c107complexIfEEjSt10multipliesIS4_EEEvPT_PKS7_jjjS7_T1_
                                        ; -- End function
	.section	.AMDGPU.csdata,"",@progbits
; Kernel info:
; codeLenInByte = 348
; NumSgprs: 37
; NumVgprs: 13
; NumAgprs: 0
; TotalNumVgprs: 13
; ScratchSize: 0
; MemoryBound: 0
; FloatMode: 240
; IeeeMode: 1
; LDSByteSize: 0 bytes/workgroup (compile time only)
; SGPRBlocks: 4
; VGPRBlocks: 1
; NumSGPRsForWavesPerEU: 37
; NumVGPRsForWavesPerEU: 13
; AccumOffset: 16
; Occupancy: 8
; WaveLimiterHint : 0
; COMPUTE_PGM_RSRC2:SCRATCH_EN: 0
; COMPUTE_PGM_RSRC2:USER_SGPR: 2
; COMPUTE_PGM_RSRC2:TRAP_HANDLER: 0
; COMPUTE_PGM_RSRC2:TGID_X_EN: 1
; COMPUTE_PGM_RSRC2:TGID_Y_EN: 1
; COMPUTE_PGM_RSRC2:TGID_Z_EN: 0
; COMPUTE_PGM_RSRC2:TIDIG_COMP_CNT: 0
; COMPUTE_PGM_RSRC3_GFX90A:ACCUM_OFFSET: 3
; COMPUTE_PGM_RSRC3_GFX90A:TG_SPLIT: 0
	.section	.text._ZN2at6native28tensor_kernel_scan_outer_dimIN3c107complexIfEEmSt10multipliesIS4_EEEvPT_PKS7_jjjS7_T1_,"axG",@progbits,_ZN2at6native28tensor_kernel_scan_outer_dimIN3c107complexIfEEmSt10multipliesIS4_EEEvPT_PKS7_jjjS7_T1_,comdat
	.protected	_ZN2at6native28tensor_kernel_scan_outer_dimIN3c107complexIfEEmSt10multipliesIS4_EEEvPT_PKS7_jjjS7_T1_ ; -- Begin function _ZN2at6native28tensor_kernel_scan_outer_dimIN3c107complexIfEEmSt10multipliesIS4_EEEvPT_PKS7_jjjS7_T1_
	.globl	_ZN2at6native28tensor_kernel_scan_outer_dimIN3c107complexIfEEmSt10multipliesIS4_EEEvPT_PKS7_jjjS7_T1_
	.p2align	8
	.type	_ZN2at6native28tensor_kernel_scan_outer_dimIN3c107complexIfEEmSt10multipliesIS4_EEEvPT_PKS7_jjjS7_T1_,@function
_ZN2at6native28tensor_kernel_scan_outer_dimIN3c107complexIfEEmSt10multipliesIS4_EEEvPT_PKS7_jjjS7_T1_: ; @_ZN2at6native28tensor_kernel_scan_outer_dimIN3c107complexIfEEmSt10multipliesIS4_EEEvPT_PKS7_jjjS7_T1_
; %bb.0:
	s_load_dwordx4 s[8:11], s[0:1], 0x10
	s_waitcnt lgkmcnt(0)
	s_cmp_ge_u32 s2, s8
	s_cbranch_scc1 .LBB80_9
; %bb.1:
	s_load_dword s11, s[0:1], 0x30
	s_load_dword s4, s[0:1], 0x3c
	s_load_dwordx4 s[12:15], s[0:1], 0x0
	s_load_dwordx2 s[6:7], s[0:1], 0x20
	s_add_u32 s16, s0, 48
	s_addc_u32 s17, s1, 0
	s_waitcnt lgkmcnt(0)
	s_and_b32 s28, s4, 0xffff
	s_cmp_lg_u32 s10, 0
	s_mul_i32 s3, s3, s28
	s_cselect_b64 s[22:23], -1, 0
	v_add_u32_e32 v4, s3, v0
	s_mov_b32 s5, 0
	s_mov_b32 s4, s9
	s_mul_hi_u32 s19, s10, s9
	s_mul_i32 s18, s10, s9
	v_cndmask_b32_e64 v0, 0, 1, s[22:23]
	v_cmp_gt_u32_e64 s[0:1], s9, v4
	s_lshl_b64 s[18:19], s[18:19], 3
	s_lshl_b64 s[20:21], s[4:5], 3
	v_cmp_ne_u32_e64 s[4:5], 1, v0
	v_mov_b32_e32 v1, 0
	s_branch .LBB80_3
.LBB80_2:                               ;   in Loop: Header=BB80_3 Depth=1
	s_or_b64 exec, exec, s[22:23]
	s_add_i32 s2, s2, s11
	s_cmp_ge_u32 s2, s8
	s_cbranch_scc1 .LBB80_9
.LBB80_3:                               ; =>This Loop Header: Depth=1
                                        ;     Child Loop BB80_6 Depth 2
                                        ;       Child Loop BB80_8 Depth 3
	s_and_saveexec_b64 s[22:23], s[0:1]
	s_cbranch_execz .LBB80_2
; %bb.4:                                ;   in Loop: Header=BB80_3 Depth=1
	s_load_dword s3, s[16:17], 0x4
	s_mul_i32 s25, s19, s2
	s_mul_hi_u32 s26, s18, s2
	s_mul_i32 s24, s18, s2
	s_add_i32 s25, s26, s25
	s_waitcnt lgkmcnt(0)
	s_mul_i32 s3, s3, s28
	s_mov_b64 s[26:27], 0
	v_mov_b32_e32 v0, v4
	s_branch .LBB80_6
.LBB80_5:                               ;   in Loop: Header=BB80_6 Depth=2
	v_add_u32_e32 v0, s3, v0
	v_cmp_le_u32_e32 vcc, s9, v0
	s_or_b64 s[26:27], vcc, s[26:27]
	s_andn2_b64 exec, exec, s[26:27]
	s_cbranch_execz .LBB80_2
.LBB80_6:                               ;   Parent Loop BB80_3 Depth=1
                                        ; =>  This Loop Header: Depth=2
                                        ;       Child Loop BB80_8 Depth 3
	s_and_b64 vcc, exec, s[4:5]
	s_cbranch_vccnz .LBB80_5
; %bb.7:                                ;   in Loop: Header=BB80_6 Depth=2
	v_lshl_add_u64 v[2:3], v[0:1], 3, s[24:25]
	v_mov_b32_e32 v5, s7
	v_mov_b32_e32 v6, s6
	s_mov_b32 s29, s10
.LBB80_8:                               ;   Parent Loop BB80_3 Depth=1
                                        ;     Parent Loop BB80_6 Depth=2
                                        ; =>    This Inner Loop Header: Depth=3
	v_lshl_add_u64 v[8:9], s[14:15], 0, v[2:3]
	global_load_dwordx2 v[8:9], v[8:9], off
	s_add_i32 s29, s29, -1
	v_lshl_add_u64 v[10:11], s[12:13], 0, v[2:3]
	v_lshl_add_u64 v[2:3], v[2:3], 0, s[20:21]
	s_cmp_eq_u32 s29, 0
	s_waitcnt vmcnt(0)
	v_mul_f32_e32 v7, v9, v6
	v_mul_f32_e32 v12, v9, v5
	v_fmac_f32_e32 v7, v8, v5
	v_fma_f32 v6, v8, v6, -v12
	v_mov_b32_e32 v5, v7
	global_store_dwordx2 v[10:11], v[6:7], off
	s_cbranch_scc0 .LBB80_8
	s_branch .LBB80_5
.LBB80_9:
	s_endpgm
	.section	.rodata,"a",@progbits
	.p2align	6, 0x0
	.amdhsa_kernel _ZN2at6native28tensor_kernel_scan_outer_dimIN3c107complexIfEEmSt10multipliesIS4_EEEvPT_PKS7_jjjS7_T1_
		.amdhsa_group_segment_fixed_size 0
		.amdhsa_private_segment_fixed_size 0
		.amdhsa_kernarg_size 304
		.amdhsa_user_sgpr_count 2
		.amdhsa_user_sgpr_dispatch_ptr 0
		.amdhsa_user_sgpr_queue_ptr 0
		.amdhsa_user_sgpr_kernarg_segment_ptr 1
		.amdhsa_user_sgpr_dispatch_id 0
		.amdhsa_user_sgpr_kernarg_preload_length 0
		.amdhsa_user_sgpr_kernarg_preload_offset 0
		.amdhsa_user_sgpr_private_segment_size 0
		.amdhsa_uses_dynamic_stack 0
		.amdhsa_enable_private_segment 0
		.amdhsa_system_sgpr_workgroup_id_x 1
		.amdhsa_system_sgpr_workgroup_id_y 1
		.amdhsa_system_sgpr_workgroup_id_z 0
		.amdhsa_system_sgpr_workgroup_info 0
		.amdhsa_system_vgpr_workitem_id 0
		.amdhsa_next_free_vgpr 13
		.amdhsa_next_free_sgpr 30
		.amdhsa_accum_offset 16
		.amdhsa_reserve_vcc 1
		.amdhsa_float_round_mode_32 0
		.amdhsa_float_round_mode_16_64 0
		.amdhsa_float_denorm_mode_32 3
		.amdhsa_float_denorm_mode_16_64 3
		.amdhsa_dx10_clamp 1
		.amdhsa_ieee_mode 1
		.amdhsa_fp16_overflow 0
		.amdhsa_tg_split 0
		.amdhsa_exception_fp_ieee_invalid_op 0
		.amdhsa_exception_fp_denorm_src 0
		.amdhsa_exception_fp_ieee_div_zero 0
		.amdhsa_exception_fp_ieee_overflow 0
		.amdhsa_exception_fp_ieee_underflow 0
		.amdhsa_exception_fp_ieee_inexact 0
		.amdhsa_exception_int_div_zero 0
	.end_amdhsa_kernel
	.section	.text._ZN2at6native28tensor_kernel_scan_outer_dimIN3c107complexIfEEmSt10multipliesIS4_EEEvPT_PKS7_jjjS7_T1_,"axG",@progbits,_ZN2at6native28tensor_kernel_scan_outer_dimIN3c107complexIfEEmSt10multipliesIS4_EEEvPT_PKS7_jjjS7_T1_,comdat
.Lfunc_end80:
	.size	_ZN2at6native28tensor_kernel_scan_outer_dimIN3c107complexIfEEmSt10multipliesIS4_EEEvPT_PKS7_jjjS7_T1_, .Lfunc_end80-_ZN2at6native28tensor_kernel_scan_outer_dimIN3c107complexIfEEmSt10multipliesIS4_EEEvPT_PKS7_jjjS7_T1_
                                        ; -- End function
	.section	.AMDGPU.csdata,"",@progbits
; Kernel info:
; codeLenInByte = 348
; NumSgprs: 36
; NumVgprs: 13
; NumAgprs: 0
; TotalNumVgprs: 13
; ScratchSize: 0
; MemoryBound: 0
; FloatMode: 240
; IeeeMode: 1
; LDSByteSize: 0 bytes/workgroup (compile time only)
; SGPRBlocks: 4
; VGPRBlocks: 1
; NumSGPRsForWavesPerEU: 36
; NumVGPRsForWavesPerEU: 13
; AccumOffset: 16
; Occupancy: 8
; WaveLimiterHint : 0
; COMPUTE_PGM_RSRC2:SCRATCH_EN: 0
; COMPUTE_PGM_RSRC2:USER_SGPR: 2
; COMPUTE_PGM_RSRC2:TRAP_HANDLER: 0
; COMPUTE_PGM_RSRC2:TGID_X_EN: 1
; COMPUTE_PGM_RSRC2:TGID_Y_EN: 1
; COMPUTE_PGM_RSRC2:TGID_Z_EN: 0
; COMPUTE_PGM_RSRC2:TIDIG_COMP_CNT: 0
; COMPUTE_PGM_RSRC3_GFX90A:ACCUM_OFFSET: 3
; COMPUTE_PGM_RSRC3_GFX90A:TG_SPLIT: 0
	.section	.text._ZN7rocprim17ROCPRIM_304000_NS6detail31init_lookback_scan_state_kernelINS1_19lookback_scan_stateIN3c104HalfELb1ELb1EEEEEvT_jjPNS7_10value_typeE,"axG",@progbits,_ZN7rocprim17ROCPRIM_304000_NS6detail31init_lookback_scan_state_kernelINS1_19lookback_scan_stateIN3c104HalfELb1ELb1EEEEEvT_jjPNS7_10value_typeE,comdat
	.protected	_ZN7rocprim17ROCPRIM_304000_NS6detail31init_lookback_scan_state_kernelINS1_19lookback_scan_stateIN3c104HalfELb1ELb1EEEEEvT_jjPNS7_10value_typeE ; -- Begin function _ZN7rocprim17ROCPRIM_304000_NS6detail31init_lookback_scan_state_kernelINS1_19lookback_scan_stateIN3c104HalfELb1ELb1EEEEEvT_jjPNS7_10value_typeE
	.globl	_ZN7rocprim17ROCPRIM_304000_NS6detail31init_lookback_scan_state_kernelINS1_19lookback_scan_stateIN3c104HalfELb1ELb1EEEEEvT_jjPNS7_10value_typeE
	.p2align	8
	.type	_ZN7rocprim17ROCPRIM_304000_NS6detail31init_lookback_scan_state_kernelINS1_19lookback_scan_stateIN3c104HalfELb1ELb1EEEEEvT_jjPNS7_10value_typeE,@function
_ZN7rocprim17ROCPRIM_304000_NS6detail31init_lookback_scan_state_kernelINS1_19lookback_scan_stateIN3c104HalfELb1ELb1EEEEEvT_jjPNS7_10value_typeE: ; @_ZN7rocprim17ROCPRIM_304000_NS6detail31init_lookback_scan_state_kernelINS1_19lookback_scan_stateIN3c104HalfELb1ELb1EEEEEvT_jjPNS7_10value_typeE
; %bb.0:
	s_load_dword s3, s[0:1], 0x24
	s_load_dwordx2 s[8:9], s[0:1], 0x10
	s_load_dwordx4 s[4:7], s[0:1], 0x0
	s_waitcnt lgkmcnt(0)
	s_and_b32 s0, s3, 0xffff
	s_mul_i32 s2, s2, s0
	s_cmp_eq_u64 s[8:9], 0
	v_add_u32_e32 v0, s2, v0
	s_cbranch_scc1 .LBB81_9
; %bb.1:
	s_cmp_lt_u32 s7, s6
	s_cselect_b32 s0, s7, 0
	s_mov_b32 s3, 0
	v_cmp_eq_u32_e32 vcc, s0, v0
	s_and_saveexec_b64 s[0:1], vcc
	s_cbranch_execz .LBB81_8
; %bb.2:
	s_add_i32 s2, s7, 64
	s_lshl_b64 s[2:3], s[2:3], 2
	s_add_u32 s2, s4, s2
	s_addc_u32 s3, s5, s3
	v_mov_b32_e32 v1, 0
	global_load_dword v2, v1, s[2:3] sc1
	s_waitcnt vmcnt(0)
	v_and_b32_e32 v3, 0xff0000, v2
	v_cmp_ne_u32_e32 vcc, 0, v3
	s_cbranch_vccnz .LBB81_7
; %bb.3:
	s_mov_b32 s7, 1
.LBB81_4:                               ; =>This Loop Header: Depth=1
                                        ;     Child Loop BB81_5 Depth 2
	s_max_u32 s10, s7, 1
.LBB81_5:                               ;   Parent Loop BB81_4 Depth=1
                                        ; =>  This Inner Loop Header: Depth=2
	s_add_i32 s10, s10, -1
	s_cmp_eq_u32 s10, 0
	s_sleep 1
	s_cbranch_scc0 .LBB81_5
; %bb.6:                                ;   in Loop: Header=BB81_4 Depth=1
	global_load_dword v2, v1, s[2:3] sc1
	s_cmp_lt_u32 s7, 32
	s_cselect_b64 s[10:11], -1, 0
	s_cmp_lg_u64 s[10:11], 0
	s_addc_u32 s7, s7, 0
	s_waitcnt vmcnt(0)
	v_and_b32_e32 v3, 0xff0000, v2
	v_cmp_ne_u32_e32 vcc, 0, v3
	s_cbranch_vccz .LBB81_4
.LBB81_7:
	v_mov_b32_e32 v1, 0
	global_store_short v1, v2, s[8:9]
.LBB81_8:
	s_or_b64 exec, exec, s[0:1]
.LBB81_9:
	v_cmp_gt_u32_e32 vcc, s6, v0
	s_and_saveexec_b64 s[0:1], vcc
	s_cbranch_execnz .LBB81_12
; %bb.10:
	s_or_b64 exec, exec, s[0:1]
	v_cmp_gt_u32_e32 vcc, 64, v0
	s_and_saveexec_b64 s[0:1], vcc
	s_cbranch_execnz .LBB81_13
.LBB81_11:
	s_endpgm
.LBB81_12:
	v_add_u32_e32 v2, 64, v0
	v_mov_b32_e32 v3, 0
	v_lshl_add_u64 v[4:5], v[2:3], 2, s[4:5]
	global_store_dword v[4:5], v3, off
	s_or_b64 exec, exec, s[0:1]
	v_cmp_gt_u32_e32 vcc, 64, v0
	s_and_saveexec_b64 s[0:1], vcc
	s_cbranch_execz .LBB81_11
.LBB81_13:
	v_mov_b32_e32 v1, 0
	v_lshl_add_u64 v[0:1], v[0:1], 2, s[4:5]
	v_mov_b32_e32 v2, 0xff0000
	global_store_dword v[0:1], v2, off
	s_endpgm
	.section	.rodata,"a",@progbits
	.p2align	6, 0x0
	.amdhsa_kernel _ZN7rocprim17ROCPRIM_304000_NS6detail31init_lookback_scan_state_kernelINS1_19lookback_scan_stateIN3c104HalfELb1ELb1EEEEEvT_jjPNS7_10value_typeE
		.amdhsa_group_segment_fixed_size 0
		.amdhsa_private_segment_fixed_size 0
		.amdhsa_kernarg_size 280
		.amdhsa_user_sgpr_count 2
		.amdhsa_user_sgpr_dispatch_ptr 0
		.amdhsa_user_sgpr_queue_ptr 0
		.amdhsa_user_sgpr_kernarg_segment_ptr 1
		.amdhsa_user_sgpr_dispatch_id 0
		.amdhsa_user_sgpr_kernarg_preload_length 0
		.amdhsa_user_sgpr_kernarg_preload_offset 0
		.amdhsa_user_sgpr_private_segment_size 0
		.amdhsa_uses_dynamic_stack 0
		.amdhsa_enable_private_segment 0
		.amdhsa_system_sgpr_workgroup_id_x 1
		.amdhsa_system_sgpr_workgroup_id_y 0
		.amdhsa_system_sgpr_workgroup_id_z 0
		.amdhsa_system_sgpr_workgroup_info 0
		.amdhsa_system_vgpr_workitem_id 0
		.amdhsa_next_free_vgpr 6
		.amdhsa_next_free_sgpr 12
		.amdhsa_accum_offset 8
		.amdhsa_reserve_vcc 1
		.amdhsa_float_round_mode_32 0
		.amdhsa_float_round_mode_16_64 0
		.amdhsa_float_denorm_mode_32 3
		.amdhsa_float_denorm_mode_16_64 3
		.amdhsa_dx10_clamp 1
		.amdhsa_ieee_mode 1
		.amdhsa_fp16_overflow 0
		.amdhsa_tg_split 0
		.amdhsa_exception_fp_ieee_invalid_op 0
		.amdhsa_exception_fp_denorm_src 0
		.amdhsa_exception_fp_ieee_div_zero 0
		.amdhsa_exception_fp_ieee_overflow 0
		.amdhsa_exception_fp_ieee_underflow 0
		.amdhsa_exception_fp_ieee_inexact 0
		.amdhsa_exception_int_div_zero 0
	.end_amdhsa_kernel
	.section	.text._ZN7rocprim17ROCPRIM_304000_NS6detail31init_lookback_scan_state_kernelINS1_19lookback_scan_stateIN3c104HalfELb1ELb1EEEEEvT_jjPNS7_10value_typeE,"axG",@progbits,_ZN7rocprim17ROCPRIM_304000_NS6detail31init_lookback_scan_state_kernelINS1_19lookback_scan_stateIN3c104HalfELb1ELb1EEEEEvT_jjPNS7_10value_typeE,comdat
.Lfunc_end81:
	.size	_ZN7rocprim17ROCPRIM_304000_NS6detail31init_lookback_scan_state_kernelINS1_19lookback_scan_stateIN3c104HalfELb1ELb1EEEEEvT_jjPNS7_10value_typeE, .Lfunc_end81-_ZN7rocprim17ROCPRIM_304000_NS6detail31init_lookback_scan_state_kernelINS1_19lookback_scan_stateIN3c104HalfELb1ELb1EEEEEvT_jjPNS7_10value_typeE
                                        ; -- End function
	.section	.AMDGPU.csdata,"",@progbits
; Kernel info:
; codeLenInByte = 312
; NumSgprs: 18
; NumVgprs: 6
; NumAgprs: 0
; TotalNumVgprs: 6
; ScratchSize: 0
; MemoryBound: 0
; FloatMode: 240
; IeeeMode: 1
; LDSByteSize: 0 bytes/workgroup (compile time only)
; SGPRBlocks: 2
; VGPRBlocks: 0
; NumSGPRsForWavesPerEU: 18
; NumVGPRsForWavesPerEU: 6
; AccumOffset: 8
; Occupancy: 8
; WaveLimiterHint : 0
; COMPUTE_PGM_RSRC2:SCRATCH_EN: 0
; COMPUTE_PGM_RSRC2:USER_SGPR: 2
; COMPUTE_PGM_RSRC2:TRAP_HANDLER: 0
; COMPUTE_PGM_RSRC2:TGID_X_EN: 1
; COMPUTE_PGM_RSRC2:TGID_Y_EN: 0
; COMPUTE_PGM_RSRC2:TGID_Z_EN: 0
; COMPUTE_PGM_RSRC2:TIDIG_COMP_CNT: 0
; COMPUTE_PGM_RSRC3_GFX90A:ACCUM_OFFSET: 1
; COMPUTE_PGM_RSRC3_GFX90A:TG_SPLIT: 0
	.section	.text._ZN7rocprim17ROCPRIM_304000_NS6detail31init_lookback_scan_state_kernelINS1_19lookback_scan_stateIN3c104HalfELb0ELb1EEEEEvT_jjPNS7_10value_typeE,"axG",@progbits,_ZN7rocprim17ROCPRIM_304000_NS6detail31init_lookback_scan_state_kernelINS1_19lookback_scan_stateIN3c104HalfELb0ELb1EEEEEvT_jjPNS7_10value_typeE,comdat
	.protected	_ZN7rocprim17ROCPRIM_304000_NS6detail31init_lookback_scan_state_kernelINS1_19lookback_scan_stateIN3c104HalfELb0ELb1EEEEEvT_jjPNS7_10value_typeE ; -- Begin function _ZN7rocprim17ROCPRIM_304000_NS6detail31init_lookback_scan_state_kernelINS1_19lookback_scan_stateIN3c104HalfELb0ELb1EEEEEvT_jjPNS7_10value_typeE
	.globl	_ZN7rocprim17ROCPRIM_304000_NS6detail31init_lookback_scan_state_kernelINS1_19lookback_scan_stateIN3c104HalfELb0ELb1EEEEEvT_jjPNS7_10value_typeE
	.p2align	8
	.type	_ZN7rocprim17ROCPRIM_304000_NS6detail31init_lookback_scan_state_kernelINS1_19lookback_scan_stateIN3c104HalfELb0ELb1EEEEEvT_jjPNS7_10value_typeE,@function
_ZN7rocprim17ROCPRIM_304000_NS6detail31init_lookback_scan_state_kernelINS1_19lookback_scan_stateIN3c104HalfELb0ELb1EEEEEvT_jjPNS7_10value_typeE: ; @_ZN7rocprim17ROCPRIM_304000_NS6detail31init_lookback_scan_state_kernelINS1_19lookback_scan_stateIN3c104HalfELb0ELb1EEEEEvT_jjPNS7_10value_typeE
; %bb.0:
	s_load_dword s3, s[0:1], 0x24
	s_load_dwordx2 s[8:9], s[0:1], 0x10
	s_load_dwordx4 s[4:7], s[0:1], 0x0
	s_waitcnt lgkmcnt(0)
	s_and_b32 s0, s3, 0xffff
	s_mul_i32 s2, s2, s0
	s_cmp_eq_u64 s[8:9], 0
	v_add_u32_e32 v0, s2, v0
	s_cbranch_scc1 .LBB82_6
; %bb.1:
	s_cmp_lt_u32 s7, s6
	s_cselect_b32 s0, s7, 0
	s_mov_b32 s3, 0
	v_cmp_eq_u32_e32 vcc, s0, v0
	s_and_saveexec_b64 s[0:1], vcc
	s_cbranch_execz .LBB82_5
; %bb.2:
	s_add_i32 s2, s7, 64
	s_lshl_b64 s[2:3], s[2:3], 2
	s_add_u32 s2, s4, s2
	s_addc_u32 s3, s5, s3
	v_mov_b32_e32 v2, 0
	global_load_dword v1, v2, s[2:3] sc1
	s_waitcnt vmcnt(0)
	v_and_b32_e32 v3, 0xff0000, v1
	v_cmp_ne_u32_e32 vcc, 0, v3
	s_cbranch_vccnz .LBB82_4
.LBB82_3:                               ; =>This Inner Loop Header: Depth=1
	global_load_dword v1, v2, s[2:3] sc1
	s_waitcnt vmcnt(0)
	v_and_b32_e32 v3, 0xff0000, v1
	v_cmp_eq_u32_e32 vcc, 0, v3
	s_cbranch_vccnz .LBB82_3
.LBB82_4:
	v_mov_b32_e32 v2, 0
	global_store_short v2, v1, s[8:9]
.LBB82_5:
	s_or_b64 exec, exec, s[0:1]
.LBB82_6:
	v_cmp_gt_u32_e32 vcc, s6, v0
	s_and_saveexec_b64 s[0:1], vcc
	s_cbranch_execnz .LBB82_9
; %bb.7:
	s_or_b64 exec, exec, s[0:1]
	v_cmp_gt_u32_e32 vcc, 64, v0
	s_and_saveexec_b64 s[0:1], vcc
	s_cbranch_execnz .LBB82_10
.LBB82_8:
	s_endpgm
.LBB82_9:
	v_add_u32_e32 v2, 64, v0
	v_mov_b32_e32 v3, 0
	v_lshl_add_u64 v[4:5], v[2:3], 2, s[4:5]
	global_store_dword v[4:5], v3, off
	s_or_b64 exec, exec, s[0:1]
	v_cmp_gt_u32_e32 vcc, 64, v0
	s_and_saveexec_b64 s[0:1], vcc
	s_cbranch_execz .LBB82_8
.LBB82_10:
	v_mov_b32_e32 v1, 0
	v_lshl_add_u64 v[0:1], v[0:1], 2, s[4:5]
	v_mov_b32_e32 v2, 0xff0000
	global_store_dword v[0:1], v2, off
	s_endpgm
	.section	.rodata,"a",@progbits
	.p2align	6, 0x0
	.amdhsa_kernel _ZN7rocprim17ROCPRIM_304000_NS6detail31init_lookback_scan_state_kernelINS1_19lookback_scan_stateIN3c104HalfELb0ELb1EEEEEvT_jjPNS7_10value_typeE
		.amdhsa_group_segment_fixed_size 0
		.amdhsa_private_segment_fixed_size 0
		.amdhsa_kernarg_size 280
		.amdhsa_user_sgpr_count 2
		.amdhsa_user_sgpr_dispatch_ptr 0
		.amdhsa_user_sgpr_queue_ptr 0
		.amdhsa_user_sgpr_kernarg_segment_ptr 1
		.amdhsa_user_sgpr_dispatch_id 0
		.amdhsa_user_sgpr_kernarg_preload_length 0
		.amdhsa_user_sgpr_kernarg_preload_offset 0
		.amdhsa_user_sgpr_private_segment_size 0
		.amdhsa_uses_dynamic_stack 0
		.amdhsa_enable_private_segment 0
		.amdhsa_system_sgpr_workgroup_id_x 1
		.amdhsa_system_sgpr_workgroup_id_y 0
		.amdhsa_system_sgpr_workgroup_id_z 0
		.amdhsa_system_sgpr_workgroup_info 0
		.amdhsa_system_vgpr_workitem_id 0
		.amdhsa_next_free_vgpr 6
		.amdhsa_next_free_sgpr 10
		.amdhsa_accum_offset 8
		.amdhsa_reserve_vcc 1
		.amdhsa_float_round_mode_32 0
		.amdhsa_float_round_mode_16_64 0
		.amdhsa_float_denorm_mode_32 3
		.amdhsa_float_denorm_mode_16_64 3
		.amdhsa_dx10_clamp 1
		.amdhsa_ieee_mode 1
		.amdhsa_fp16_overflow 0
		.amdhsa_tg_split 0
		.amdhsa_exception_fp_ieee_invalid_op 0
		.amdhsa_exception_fp_denorm_src 0
		.amdhsa_exception_fp_ieee_div_zero 0
		.amdhsa_exception_fp_ieee_overflow 0
		.amdhsa_exception_fp_ieee_underflow 0
		.amdhsa_exception_fp_ieee_inexact 0
		.amdhsa_exception_int_div_zero 0
	.end_amdhsa_kernel
	.section	.text._ZN7rocprim17ROCPRIM_304000_NS6detail31init_lookback_scan_state_kernelINS1_19lookback_scan_stateIN3c104HalfELb0ELb1EEEEEvT_jjPNS7_10value_typeE,"axG",@progbits,_ZN7rocprim17ROCPRIM_304000_NS6detail31init_lookback_scan_state_kernelINS1_19lookback_scan_stateIN3c104HalfELb0ELb1EEEEEvT_jjPNS7_10value_typeE,comdat
.Lfunc_end82:
	.size	_ZN7rocprim17ROCPRIM_304000_NS6detail31init_lookback_scan_state_kernelINS1_19lookback_scan_stateIN3c104HalfELb0ELb1EEEEEvT_jjPNS7_10value_typeE, .Lfunc_end82-_ZN7rocprim17ROCPRIM_304000_NS6detail31init_lookback_scan_state_kernelINS1_19lookback_scan_stateIN3c104HalfELb0ELb1EEEEEvT_jjPNS7_10value_typeE
                                        ; -- End function
	.section	.AMDGPU.csdata,"",@progbits
; Kernel info:
; codeLenInByte = 272
; NumSgprs: 16
; NumVgprs: 6
; NumAgprs: 0
; TotalNumVgprs: 6
; ScratchSize: 0
; MemoryBound: 0
; FloatMode: 240
; IeeeMode: 1
; LDSByteSize: 0 bytes/workgroup (compile time only)
; SGPRBlocks: 1
; VGPRBlocks: 0
; NumSGPRsForWavesPerEU: 16
; NumVGPRsForWavesPerEU: 6
; AccumOffset: 8
; Occupancy: 8
; WaveLimiterHint : 0
; COMPUTE_PGM_RSRC2:SCRATCH_EN: 0
; COMPUTE_PGM_RSRC2:USER_SGPR: 2
; COMPUTE_PGM_RSRC2:TRAP_HANDLER: 0
; COMPUTE_PGM_RSRC2:TGID_X_EN: 1
; COMPUTE_PGM_RSRC2:TGID_Y_EN: 0
; COMPUTE_PGM_RSRC2:TGID_Z_EN: 0
; COMPUTE_PGM_RSRC2:TIDIG_COMP_CNT: 0
; COMPUTE_PGM_RSRC3_GFX90A:ACCUM_OFFSET: 1
; COMPUTE_PGM_RSRC3_GFX90A:TG_SPLIT: 0
	.section	.text._ZN7rocprim17ROCPRIM_304000_NS6detail20lookback_scan_kernelILNS1_25lookback_scan_determinismE0ELb0ENS1_19wrapped_scan_configINS0_14default_configEN3c104HalfEEEPKS7_PS7_St10multipliesIS7_ES7_S7_NS1_19lookback_scan_stateIS7_Lb1ELb1EEEEEvT2_T3_mT5_T4_T7_jPT6_SM_bb,"axG",@progbits,_ZN7rocprim17ROCPRIM_304000_NS6detail20lookback_scan_kernelILNS1_25lookback_scan_determinismE0ELb0ENS1_19wrapped_scan_configINS0_14default_configEN3c104HalfEEEPKS7_PS7_St10multipliesIS7_ES7_S7_NS1_19lookback_scan_stateIS7_Lb1ELb1EEEEEvT2_T3_mT5_T4_T7_jPT6_SM_bb,comdat
	.protected	_ZN7rocprim17ROCPRIM_304000_NS6detail20lookback_scan_kernelILNS1_25lookback_scan_determinismE0ELb0ENS1_19wrapped_scan_configINS0_14default_configEN3c104HalfEEEPKS7_PS7_St10multipliesIS7_ES7_S7_NS1_19lookback_scan_stateIS7_Lb1ELb1EEEEEvT2_T3_mT5_T4_T7_jPT6_SM_bb ; -- Begin function _ZN7rocprim17ROCPRIM_304000_NS6detail20lookback_scan_kernelILNS1_25lookback_scan_determinismE0ELb0ENS1_19wrapped_scan_configINS0_14default_configEN3c104HalfEEEPKS7_PS7_St10multipliesIS7_ES7_S7_NS1_19lookback_scan_stateIS7_Lb1ELb1EEEEEvT2_T3_mT5_T4_T7_jPT6_SM_bb
	.globl	_ZN7rocprim17ROCPRIM_304000_NS6detail20lookback_scan_kernelILNS1_25lookback_scan_determinismE0ELb0ENS1_19wrapped_scan_configINS0_14default_configEN3c104HalfEEEPKS7_PS7_St10multipliesIS7_ES7_S7_NS1_19lookback_scan_stateIS7_Lb1ELb1EEEEEvT2_T3_mT5_T4_T7_jPT6_SM_bb
	.p2align	8
	.type	_ZN7rocprim17ROCPRIM_304000_NS6detail20lookback_scan_kernelILNS1_25lookback_scan_determinismE0ELb0ENS1_19wrapped_scan_configINS0_14default_configEN3c104HalfEEEPKS7_PS7_St10multipliesIS7_ES7_S7_NS1_19lookback_scan_stateIS7_Lb1ELb1EEEEEvT2_T3_mT5_T4_T7_jPT6_SM_bb,@function
_ZN7rocprim17ROCPRIM_304000_NS6detail20lookback_scan_kernelILNS1_25lookback_scan_determinismE0ELb0ENS1_19wrapped_scan_configINS0_14default_configEN3c104HalfEEEPKS7_PS7_St10multipliesIS7_ES7_S7_NS1_19lookback_scan_stateIS7_Lb1ELb1EEEEEvT2_T3_mT5_T4_T7_jPT6_SM_bb: ; @_ZN7rocprim17ROCPRIM_304000_NS6detail20lookback_scan_kernelILNS1_25lookback_scan_determinismE0ELb0ENS1_19wrapped_scan_configINS0_14default_configEN3c104HalfEEEPKS7_PS7_St10multipliesIS7_ES7_S7_NS1_19lookback_scan_stateIS7_Lb1ELb1EEEEEvT2_T3_mT5_T4_T7_jPT6_SM_bb
; %bb.0:
	s_endpgm
	.section	.rodata,"a",@progbits
	.p2align	6, 0x0
	.amdhsa_kernel _ZN7rocprim17ROCPRIM_304000_NS6detail20lookback_scan_kernelILNS1_25lookback_scan_determinismE0ELb0ENS1_19wrapped_scan_configINS0_14default_configEN3c104HalfEEEPKS7_PS7_St10multipliesIS7_ES7_S7_NS1_19lookback_scan_stateIS7_Lb1ELb1EEEEEvT2_T3_mT5_T4_T7_jPT6_SM_bb
		.amdhsa_group_segment_fixed_size 0
		.amdhsa_private_segment_fixed_size 0
		.amdhsa_kernarg_size 68
		.amdhsa_user_sgpr_count 2
		.amdhsa_user_sgpr_dispatch_ptr 0
		.amdhsa_user_sgpr_queue_ptr 0
		.amdhsa_user_sgpr_kernarg_segment_ptr 1
		.amdhsa_user_sgpr_dispatch_id 0
		.amdhsa_user_sgpr_kernarg_preload_length 0
		.amdhsa_user_sgpr_kernarg_preload_offset 0
		.amdhsa_user_sgpr_private_segment_size 0
		.amdhsa_uses_dynamic_stack 0
		.amdhsa_enable_private_segment 0
		.amdhsa_system_sgpr_workgroup_id_x 1
		.amdhsa_system_sgpr_workgroup_id_y 0
		.amdhsa_system_sgpr_workgroup_id_z 0
		.amdhsa_system_sgpr_workgroup_info 0
		.amdhsa_system_vgpr_workitem_id 0
		.amdhsa_next_free_vgpr 1
		.amdhsa_next_free_sgpr 0
		.amdhsa_accum_offset 4
		.amdhsa_reserve_vcc 0
		.amdhsa_float_round_mode_32 0
		.amdhsa_float_round_mode_16_64 0
		.amdhsa_float_denorm_mode_32 3
		.amdhsa_float_denorm_mode_16_64 3
		.amdhsa_dx10_clamp 1
		.amdhsa_ieee_mode 1
		.amdhsa_fp16_overflow 0
		.amdhsa_tg_split 0
		.amdhsa_exception_fp_ieee_invalid_op 0
		.amdhsa_exception_fp_denorm_src 0
		.amdhsa_exception_fp_ieee_div_zero 0
		.amdhsa_exception_fp_ieee_overflow 0
		.amdhsa_exception_fp_ieee_underflow 0
		.amdhsa_exception_fp_ieee_inexact 0
		.amdhsa_exception_int_div_zero 0
	.end_amdhsa_kernel
	.section	.text._ZN7rocprim17ROCPRIM_304000_NS6detail20lookback_scan_kernelILNS1_25lookback_scan_determinismE0ELb0ENS1_19wrapped_scan_configINS0_14default_configEN3c104HalfEEEPKS7_PS7_St10multipliesIS7_ES7_S7_NS1_19lookback_scan_stateIS7_Lb1ELb1EEEEEvT2_T3_mT5_T4_T7_jPT6_SM_bb,"axG",@progbits,_ZN7rocprim17ROCPRIM_304000_NS6detail20lookback_scan_kernelILNS1_25lookback_scan_determinismE0ELb0ENS1_19wrapped_scan_configINS0_14default_configEN3c104HalfEEEPKS7_PS7_St10multipliesIS7_ES7_S7_NS1_19lookback_scan_stateIS7_Lb1ELb1EEEEEvT2_T3_mT5_T4_T7_jPT6_SM_bb,comdat
.Lfunc_end83:
	.size	_ZN7rocprim17ROCPRIM_304000_NS6detail20lookback_scan_kernelILNS1_25lookback_scan_determinismE0ELb0ENS1_19wrapped_scan_configINS0_14default_configEN3c104HalfEEEPKS7_PS7_St10multipliesIS7_ES7_S7_NS1_19lookback_scan_stateIS7_Lb1ELb1EEEEEvT2_T3_mT5_T4_T7_jPT6_SM_bb, .Lfunc_end83-_ZN7rocprim17ROCPRIM_304000_NS6detail20lookback_scan_kernelILNS1_25lookback_scan_determinismE0ELb0ENS1_19wrapped_scan_configINS0_14default_configEN3c104HalfEEEPKS7_PS7_St10multipliesIS7_ES7_S7_NS1_19lookback_scan_stateIS7_Lb1ELb1EEEEEvT2_T3_mT5_T4_T7_jPT6_SM_bb
                                        ; -- End function
	.section	.AMDGPU.csdata,"",@progbits
; Kernel info:
; codeLenInByte = 4
; NumSgprs: 6
; NumVgprs: 0
; NumAgprs: 0
; TotalNumVgprs: 0
; ScratchSize: 0
; MemoryBound: 0
; FloatMode: 240
; IeeeMode: 1
; LDSByteSize: 0 bytes/workgroup (compile time only)
; SGPRBlocks: 0
; VGPRBlocks: 0
; NumSGPRsForWavesPerEU: 6
; NumVGPRsForWavesPerEU: 1
; AccumOffset: 4
; Occupancy: 8
; WaveLimiterHint : 0
; COMPUTE_PGM_RSRC2:SCRATCH_EN: 0
; COMPUTE_PGM_RSRC2:USER_SGPR: 2
; COMPUTE_PGM_RSRC2:TRAP_HANDLER: 0
; COMPUTE_PGM_RSRC2:TGID_X_EN: 1
; COMPUTE_PGM_RSRC2:TGID_Y_EN: 0
; COMPUTE_PGM_RSRC2:TGID_Z_EN: 0
; COMPUTE_PGM_RSRC2:TIDIG_COMP_CNT: 0
; COMPUTE_PGM_RSRC3_GFX90A:ACCUM_OFFSET: 0
; COMPUTE_PGM_RSRC3_GFX90A:TG_SPLIT: 0
	.section	.text._ZN7rocprim17ROCPRIM_304000_NS6detail20lookback_scan_kernelILNS1_25lookback_scan_determinismE0ELb0ENS1_19wrapped_scan_configINS0_14default_configEN3c104HalfEEEPKS7_PS7_St10multipliesIS7_ES7_S7_NS1_19lookback_scan_stateIS7_Lb0ELb1EEEEEvT2_T3_mT5_T4_T7_jPT6_SM_bb,"axG",@progbits,_ZN7rocprim17ROCPRIM_304000_NS6detail20lookback_scan_kernelILNS1_25lookback_scan_determinismE0ELb0ENS1_19wrapped_scan_configINS0_14default_configEN3c104HalfEEEPKS7_PS7_St10multipliesIS7_ES7_S7_NS1_19lookback_scan_stateIS7_Lb0ELb1EEEEEvT2_T3_mT5_T4_T7_jPT6_SM_bb,comdat
	.protected	_ZN7rocprim17ROCPRIM_304000_NS6detail20lookback_scan_kernelILNS1_25lookback_scan_determinismE0ELb0ENS1_19wrapped_scan_configINS0_14default_configEN3c104HalfEEEPKS7_PS7_St10multipliesIS7_ES7_S7_NS1_19lookback_scan_stateIS7_Lb0ELb1EEEEEvT2_T3_mT5_T4_T7_jPT6_SM_bb ; -- Begin function _ZN7rocprim17ROCPRIM_304000_NS6detail20lookback_scan_kernelILNS1_25lookback_scan_determinismE0ELb0ENS1_19wrapped_scan_configINS0_14default_configEN3c104HalfEEEPKS7_PS7_St10multipliesIS7_ES7_S7_NS1_19lookback_scan_stateIS7_Lb0ELb1EEEEEvT2_T3_mT5_T4_T7_jPT6_SM_bb
	.globl	_ZN7rocprim17ROCPRIM_304000_NS6detail20lookback_scan_kernelILNS1_25lookback_scan_determinismE0ELb0ENS1_19wrapped_scan_configINS0_14default_configEN3c104HalfEEEPKS7_PS7_St10multipliesIS7_ES7_S7_NS1_19lookback_scan_stateIS7_Lb0ELb1EEEEEvT2_T3_mT5_T4_T7_jPT6_SM_bb
	.p2align	8
	.type	_ZN7rocprim17ROCPRIM_304000_NS6detail20lookback_scan_kernelILNS1_25lookback_scan_determinismE0ELb0ENS1_19wrapped_scan_configINS0_14default_configEN3c104HalfEEEPKS7_PS7_St10multipliesIS7_ES7_S7_NS1_19lookback_scan_stateIS7_Lb0ELb1EEEEEvT2_T3_mT5_T4_T7_jPT6_SM_bb,@function
_ZN7rocprim17ROCPRIM_304000_NS6detail20lookback_scan_kernelILNS1_25lookback_scan_determinismE0ELb0ENS1_19wrapped_scan_configINS0_14default_configEN3c104HalfEEEPKS7_PS7_St10multipliesIS7_ES7_S7_NS1_19lookback_scan_stateIS7_Lb0ELb1EEEEEvT2_T3_mT5_T4_T7_jPT6_SM_bb: ; @_ZN7rocprim17ROCPRIM_304000_NS6detail20lookback_scan_kernelILNS1_25lookback_scan_determinismE0ELb0ENS1_19wrapped_scan_configINS0_14default_configEN3c104HalfEEEPKS7_PS7_St10multipliesIS7_ES7_S7_NS1_19lookback_scan_stateIS7_Lb0ELb1EEEEEvT2_T3_mT5_T4_T7_jPT6_SM_bb
; %bb.0:
	s_load_dword s3, s[0:1], 0x28
	s_load_dwordx4 s[12:15], s[0:1], 0x0
	s_load_dwordx2 s[4:5], s[0:1], 0x10
	s_mul_i32 s6, s2, 0x1800
	s_mov_b32 s7, 0
	s_waitcnt lgkmcnt(0)
	s_add_i32 s3, s3, -1
	s_mul_i32 s8, s3, 0x1800
	s_sub_u32 s26, s4, s8
	s_subb_u32 s27, s5, 0
	s_cmp_lg_u32 s2, s3
	s_cselect_b64 s[16:17], -1, 0
	s_lshl_b64 s[18:19], s[6:7], 1
	s_add_u32 s6, s12, s18
	s_addc_u32 s7, s13, s19
	s_mov_b64 s[4:5], -1
	s_and_b64 vcc, exec, s[16:17]
	v_lshlrev_b32_e32 v14, 1, v0
	s_cbranch_vccz .LBB84_2
; %bb.1:
	v_mov_b32_e32 v15, 0
	v_lshl_add_u64 v[2:3], s[6:7], 0, v[14:15]
	v_add_co_u32_e32 v4, vcc, 0x1000, v2
	global_load_ushort v1, v14, s[6:7]
	global_load_ushort v6, v14, s[6:7] offset:512
	global_load_ushort v7, v14, s[6:7] offset:1024
	;; [unrolled: 1-line block ×7, first 2 shown]
	v_addc_co_u32_e32 v5, vcc, 0, v3, vcc
	v_add_co_u32_e32 v2, vcc, 0x2000, v2
	global_load_ushort v13, v[4:5], off
	global_load_ushort v15, v[4:5], off offset:512
	global_load_ushort v16, v[4:5], off offset:1024
	;; [unrolled: 1-line block ×7, first 2 shown]
	v_addc_co_u32_e32 v3, vcc, 0, v3, vcc
	global_load_ushort v4, v[2:3], off
	global_load_ushort v5, v[2:3], off offset:512
	global_load_ushort v22, v[2:3], off offset:1024
	;; [unrolled: 1-line block ×7, first 2 shown]
	s_mov_b64 s[4:5], 0
	s_waitcnt vmcnt(23)
	ds_write_b16 v14, v1
	s_waitcnt vmcnt(22)
	ds_write_b16 v14, v6 offset:512
	s_waitcnt vmcnt(21)
	ds_write_b16 v14, v7 offset:1024
	s_waitcnt vmcnt(20)
	ds_write_b16 v14, v8 offset:1536
	s_waitcnt vmcnt(19)
	ds_write_b16 v14, v9 offset:2048
	s_waitcnt vmcnt(18)
	ds_write_b16 v14, v10 offset:2560
	s_waitcnt vmcnt(17)
	ds_write_b16 v14, v11 offset:3072
	s_waitcnt vmcnt(16)
	ds_write_b16 v14, v12 offset:3584
	s_waitcnt vmcnt(15)
	ds_write_b16 v14, v13 offset:4096
	s_waitcnt vmcnt(14)
	ds_write_b16 v14, v15 offset:4608
	s_waitcnt vmcnt(13)
	ds_write_b16 v14, v16 offset:5120
	s_waitcnt vmcnt(12)
	ds_write_b16 v14, v17 offset:5632
	s_waitcnt vmcnt(11)
	ds_write_b16 v14, v18 offset:6144
	s_waitcnt vmcnt(10)
	ds_write_b16 v14, v19 offset:6656
	s_waitcnt vmcnt(9)
	ds_write_b16 v14, v20 offset:7168
	s_waitcnt vmcnt(8)
	ds_write_b16 v14, v21 offset:7680
	s_waitcnt vmcnt(7)
	ds_write_b16 v14, v4 offset:8192
	s_waitcnt vmcnt(6)
	ds_write_b16 v14, v5 offset:8704
	s_waitcnt vmcnt(5)
	ds_write_b16 v14, v22 offset:9216
	s_waitcnt vmcnt(4)
	ds_write_b16 v14, v23 offset:9728
	s_waitcnt vmcnt(3)
	ds_write_b16 v14, v24 offset:10240
	s_waitcnt vmcnt(2)
	ds_write_b16 v14, v25 offset:10752
	s_waitcnt vmcnt(1)
	ds_write_b16 v14, v26 offset:11264
	s_waitcnt vmcnt(0)
	ds_write_b16 v14, v27 offset:11776
	s_waitcnt lgkmcnt(0)
	s_barrier
.LBB84_2:
	s_andn2_b64 vcc, exec, s[4:5]
	v_cmp_gt_u32_e64 s[4:5], s26, v0
	s_cbranch_vccnz .LBB84_52
; %bb.3:
	v_mov_b32_e32 v15, 0
	global_load_ushort v1, v15, s[6:7]
	v_lshl_add_u64 v[2:3], s[6:7], 0, v[14:15]
	s_waitcnt vmcnt(0)
	v_mov_b32_e32 v4, v1
	s_and_saveexec_b64 s[6:7], s[4:5]
	s_cbranch_execz .LBB84_5
; %bb.4:
	global_load_ushort v4, v[2:3], off
.LBB84_5:
	s_or_b64 exec, exec, s[6:7]
	v_or_b32_e32 v5, 0x100, v0
	v_cmp_gt_u32_e32 vcc, s26, v5
	v_mov_b32_e32 v5, v1
	s_and_saveexec_b64 s[4:5], vcc
	s_cbranch_execz .LBB84_7
; %bb.6:
	global_load_ushort v5, v[2:3], off offset:512
.LBB84_7:
	s_or_b64 exec, exec, s[4:5]
	v_or_b32_e32 v6, 0x200, v0
	v_cmp_gt_u32_e32 vcc, s26, v6
	v_mov_b32_e32 v6, v1
	s_and_saveexec_b64 s[4:5], vcc
	s_cbranch_execz .LBB84_9
; %bb.8:
	global_load_ushort v6, v[2:3], off offset:1024
.LBB84_9:
	;; [unrolled: 9-line block ×7, first 2 shown]
	s_or_b64 exec, exec, s[4:5]
	v_or_b32_e32 v12, 0x800, v0
	v_cmp_gt_u32_e32 vcc, s26, v12
	v_mov_b32_e32 v12, v1
	s_and_saveexec_b64 s[4:5], vcc
	s_cbranch_execz .LBB84_21
; %bb.20:
	v_add_co_u32_e32 v12, vcc, 0x1000, v2
	s_nop 1
	v_addc_co_u32_e32 v13, vcc, 0, v3, vcc
	global_load_ushort v12, v[12:13], off
.LBB84_21:
	s_or_b64 exec, exec, s[4:5]
	v_or_b32_e32 v13, 0x900, v0
	v_cmp_gt_u32_e32 vcc, s26, v13
	v_mov_b32_e32 v13, v1
	s_and_saveexec_b64 s[4:5], vcc
	s_cbranch_execz .LBB84_23
; %bb.22:
	v_add_co_u32_e32 v16, vcc, 0x1000, v2
	s_nop 1
	v_addc_co_u32_e32 v17, vcc, 0, v3, vcc
	global_load_ushort v13, v[16:17], off offset:512
.LBB84_23:
	s_or_b64 exec, exec, s[4:5]
	v_or_b32_e32 v15, 0xa00, v0
	v_cmp_gt_u32_e32 vcc, s26, v15
	v_mov_b32_e32 v15, v1
	s_and_saveexec_b64 s[4:5], vcc
	s_cbranch_execz .LBB84_25
; %bb.24:
	v_add_co_u32_e32 v16, vcc, 0x1000, v2
	s_nop 1
	v_addc_co_u32_e32 v17, vcc, 0, v3, vcc
	global_load_ushort v15, v[16:17], off offset:1024
.LBB84_25:
	;; [unrolled: 12-line block ×7, first 2 shown]
	s_or_b64 exec, exec, s[4:5]
	v_or_b32_e32 v21, 0x1000, v0
	v_cmp_gt_u32_e32 vcc, s26, v21
	v_mov_b32_e32 v21, v1
	s_and_saveexec_b64 s[4:5], vcc
	s_cbranch_execz .LBB84_37
; %bb.36:
	v_add_co_u32_e32 v22, vcc, 0x2000, v2
	s_nop 1
	v_addc_co_u32_e32 v23, vcc, 0, v3, vcc
	global_load_ushort v21, v[22:23], off
.LBB84_37:
	s_or_b64 exec, exec, s[4:5]
	v_or_b32_e32 v22, 0x1100, v0
	v_cmp_gt_u32_e32 vcc, s26, v22
	v_mov_b32_e32 v22, v1
	s_and_saveexec_b64 s[4:5], vcc
	s_cbranch_execz .LBB84_39
; %bb.38:
	v_add_co_u32_e32 v22, vcc, 0x2000, v2
	s_nop 1
	v_addc_co_u32_e32 v23, vcc, 0, v3, vcc
	global_load_ushort v22, v[22:23], off offset:512
.LBB84_39:
	s_or_b64 exec, exec, s[4:5]
	v_or_b32_e32 v23, 0x1200, v0
	v_cmp_gt_u32_e32 vcc, s26, v23
	v_mov_b32_e32 v23, v1
	s_and_saveexec_b64 s[4:5], vcc
	s_cbranch_execz .LBB84_41
; %bb.40:
	v_add_co_u32_e32 v24, vcc, 0x2000, v2
	s_nop 1
	v_addc_co_u32_e32 v25, vcc, 0, v3, vcc
	global_load_ushort v23, v[24:25], off offset:1024
.LBB84_41:
	;; [unrolled: 12-line block ×6, first 2 shown]
	s_or_b64 exec, exec, s[4:5]
	v_or_b32_e32 v28, 0x1700, v0
	v_cmp_gt_u32_e32 vcc, s26, v28
	s_and_saveexec_b64 s[4:5], vcc
	s_cbranch_execz .LBB84_51
; %bb.50:
	v_add_co_u32_e32 v2, vcc, 0x2000, v2
	s_nop 1
	v_addc_co_u32_e32 v3, vcc, 0, v3, vcc
	global_load_ushort v1, v[2:3], off offset:3584
.LBB84_51:
	s_or_b64 exec, exec, s[4:5]
	s_waitcnt vmcnt(0)
	ds_write_b16 v14, v4
	ds_write_b16 v14, v5 offset:512
	ds_write_b16 v14, v6 offset:1024
	;; [unrolled: 1-line block ×23, first 2 shown]
	s_waitcnt lgkmcnt(0)
	s_barrier
.LBB84_52:
	v_mul_u32_u24_e32 v22, 24, v0
	v_lshlrev_b32_e32 v1, 1, v22
	ds_read_b128 v[10:13], v1
	ds_read_b128 v[6:9], v1 offset:16
	ds_read_b128 v[2:5], v1 offset:32
	s_load_dwordx2 s[20:21], s[0:1], 0x20
	s_cmp_lg_u32 s2, 0
	v_mbcnt_lo_u32_b32 v24, -1, 0
	v_lshrrev_b32_e32 v15, 6, v0
	v_or_b32_e32 v23, 63, v0
	s_waitcnt lgkmcnt(0)
	s_barrier
	s_cbranch_scc0 .LBB84_83
; %bb.53:
	v_mul_f16_sdwa v16, v10, v10 dst_sel:DWORD dst_unused:UNUSED_PAD src0_sel:DWORD src1_sel:WORD_1
	v_mul_f16_e32 v16, v16, v11
	v_mul_f16_sdwa v16, v16, v11 dst_sel:DWORD dst_unused:UNUSED_PAD src0_sel:DWORD src1_sel:WORD_1
	v_mul_f16_e32 v16, v16, v12
	;; [unrolled: 2-line block ×11, first 2 shown]
	v_mul_f16_sdwa v16, v16, v5 dst_sel:DWORD dst_unused:UNUSED_PAD src0_sel:DWORD src1_sel:WORD_1
	v_mbcnt_hi_u32_b32 v17, -1, v24
	v_and_b32_e32 v18, 15, v17
	v_mov_b32_dpp v19, v16 row_shr:1 row_mask:0xf bank_mask:0xf
	v_mul_f16_e32 v19, v16, v19
	v_cmp_eq_u32_e32 vcc, 0, v18
	s_nop 1
	v_cndmask_b32_e32 v16, v19, v16, vcc
	v_and_b32_e32 v19, 0xffff, v16
	v_cmp_lt_u32_e32 vcc, 1, v18
	s_nop 0
	v_mov_b32_dpp v19, v19 row_shr:2 row_mask:0xf bank_mask:0xf
	v_mul_f16_e32 v19, v16, v19
	v_cndmask_b32_e32 v16, v16, v19, vcc
	v_and_b32_e32 v19, 0xffff, v16
	v_cmp_lt_u32_e32 vcc, 3, v18
	s_nop 0
	v_mov_b32_dpp v19, v19 row_shr:4 row_mask:0xf bank_mask:0xf
	v_mul_f16_e32 v19, v16, v19
	;; [unrolled: 6-line block ×3, first 2 shown]
	v_cndmask_b32_e32 v16, v16, v19, vcc
	v_and_b32_e32 v18, 0xffff, v16
	v_and_b32_e32 v19, 16, v17
	v_cmp_eq_u32_e32 vcc, 0, v19
	v_mov_b32_dpp v18, v18 row_bcast:15 row_mask:0xf bank_mask:0xf
	v_mul_f16_e32 v18, v16, v18
	v_cndmask_b32_e32 v16, v18, v16, vcc
	v_and_b32_e32 v18, 0xffff, v16
	v_cmp_lt_u32_e32 vcc, 31, v17
	s_nop 0
	v_mov_b32_dpp v18, v18 row_bcast:31 row_mask:0xf bank_mask:0xf
	v_mul_f16_e32 v18, v16, v18
	v_cndmask_b32_e32 v16, v16, v18, vcc
	v_cmp_eq_u32_e32 vcc, v23, v0
	s_and_saveexec_b64 s[4:5], vcc
	s_cbranch_execz .LBB84_55
; %bb.54:
	v_lshlrev_b32_e32 v18, 1, v15
	ds_write_b16 v18, v16
.LBB84_55:
	s_or_b64 exec, exec, s[4:5]
	v_cmp_gt_u32_e32 vcc, 4, v0
	s_waitcnt lgkmcnt(0)
	s_barrier
	s_and_saveexec_b64 s[4:5], vcc
	s_cbranch_execz .LBB84_57
; %bb.56:
	ds_read_u16 v18, v14
	v_and_b32_e32 v19, 3, v17
	v_cmp_eq_u32_e32 vcc, 0, v19
	s_waitcnt lgkmcnt(0)
	v_and_b32_e32 v20, 0xffff, v18
	s_nop 1
	v_mov_b32_dpp v20, v20 row_shr:1 row_mask:0xf bank_mask:0xf
	v_mul_f16_e32 v20, v18, v20
	v_cndmask_b32_e32 v18, v20, v18, vcc
	v_and_b32_e32 v20, 0xffff, v18
	v_cmp_lt_u32_e32 vcc, 1, v19
	s_nop 0
	v_mov_b32_dpp v20, v20 row_shr:2 row_mask:0xf bank_mask:0xf
	v_mul_f16_e32 v20, v18, v20
	v_cndmask_b32_e32 v18, v18, v20, vcc
	ds_write_b16 v14, v18
.LBB84_57:
	s_or_b64 exec, exec, s[4:5]
	v_cmp_gt_u32_e32 vcc, 64, v0
	v_cmp_lt_u32_e64 s[4:5], 63, v0
	s_waitcnt lgkmcnt(0)
	s_barrier
	s_waitcnt lgkmcnt(0)
                                        ; implicit-def: $vgpr25
	s_and_saveexec_b64 s[6:7], s[4:5]
	s_cbranch_execz .LBB84_59
; %bb.58:
	v_lshl_add_u32 v18, v15, 1, -2
	ds_read_u16 v25, v18
	s_waitcnt lgkmcnt(0)
	v_mul_f16_e32 v16, v16, v25
.LBB84_59:
	s_or_b64 exec, exec, s[6:7]
	v_add_u32_e32 v18, -1, v17
	v_and_b32_e32 v19, 64, v17
	v_cmp_lt_i32_e64 s[4:5], v18, v19
	v_and_b32_e32 v16, 0xffff, v16
	v_cmp_eq_u32_e64 s[12:13], 0, v17
	v_cndmask_b32_e64 v18, v18, v17, s[4:5]
	v_lshlrev_b32_e32 v18, 2, v18
	ds_bpermute_b32 v26, v18, v16
	s_and_saveexec_b64 s[22:23], vcc
	s_cbranch_execz .LBB84_82
; %bb.60:
	v_mov_b32_e32 v19, 0
	ds_read_u16 v27, v19 offset:6
	s_and_saveexec_b64 s[4:5], s[12:13]
	s_cbranch_execz .LBB84_62
; %bb.61:
	s_add_i32 s6, s2, 64
	s_mov_b32 s7, 0
	s_lshl_b64 s[6:7], s[6:7], 2
	s_add_u32 s6, s20, s6
	s_addc_u32 s7, s21, s7
	s_waitcnt lgkmcnt(0)
	v_or_b32_e32 v16, 0x10000, v27
	global_store_dword v19, v16, s[6:7] sc1
.LBB84_62:
	s_or_b64 exec, exec, s[4:5]
	v_xad_u32 v16, v17, -1, s2
	v_add_u32_e32 v18, 64, v16
	v_lshl_add_u64 v[20:21], v[18:19], 2, s[20:21]
	global_load_dword v43, v[20:21], off sc1
	s_waitcnt vmcnt(0)
	v_lshrrev_b32_e32 v28, 16, v43
	v_cmp_eq_u16_sdwa s[6:7], v28, v19 src0_sel:BYTE_0 src1_sel:DWORD
	s_and_saveexec_b64 s[4:5], s[6:7]
	s_cbranch_execz .LBB84_66
; %bb.63:
	s_mov_b64 s[6:7], 0
	v_mov_b32_e32 v18, 0
.LBB84_64:                              ; =>This Inner Loop Header: Depth=1
	global_load_dword v43, v[20:21], off sc1
	s_waitcnt vmcnt(0)
	v_lshrrev_b32_e32 v28, 16, v43
	v_cmp_ne_u16_sdwa s[8:9], v28, v18 src0_sel:BYTE_0 src1_sel:DWORD
	s_or_b64 s[6:7], s[8:9], s[6:7]
	s_andn2_b64 exec, exec, s[6:7]
	s_cbranch_execnz .LBB84_64
; %bb.65:
	s_or_b64 exec, exec, s[6:7]
.LBB84_66:
	s_or_b64 exec, exec, s[4:5]
	v_and_b32_e32 v40, 63, v17
	v_cmp_ne_u32_e32 vcc, 63, v40
	v_mov_b32_e32 v29, 2
	v_cmp_eq_u16_sdwa s[4:5], v28, v29 src0_sel:BYTE_0 src1_sel:DWORD
	v_addc_co_u32_e32 v30, vcc, 0, v17, vcc
	v_lshlrev_b64 v[18:19], v17, -1
	v_and_b32_e32 v32, 0xffff, v43
	v_lshlrev_b32_e32 v30, 2, v30
	v_and_b32_e32 v20, s5, v19
	ds_bpermute_b32 v33, v30, v32
	v_or_b32_e32 v20, 0x80000000, v20
	v_and_b32_e32 v21, s4, v18
	v_ffbl_b32_e32 v20, v20
	v_add_u32_e32 v20, 32, v20
	v_ffbl_b32_e32 v21, v21
	v_cmp_gt_u32_e32 vcc, 62, v40
	v_min_u32_e32 v48, v21, v20
	v_add_u32_e32 v31, 1, v17
	v_cndmask_b32_e64 v21, 0, 1, vcc
	s_waitcnt lgkmcnt(0)
	v_mul_f16_e32 v20, v43, v33
	v_cmp_le_u32_e64 s[6:7], v31, v48
	v_lshlrev_b32_e32 v21, 1, v21
	v_add_u32_e32 v33, 2, v17
	v_cndmask_b32_e64 v34, v32, v20, s[6:7]
	v_add_lshl_u32 v32, v21, v17, 2
	ds_bpermute_b32 v21, v32, v34
	v_cndmask_b32_e64 v35, v43, v20, s[6:7]
	v_cmp_le_u32_e32 vcc, v33, v48
	v_cmp_gt_u32_e64 s[4:5], 60, v40
	v_cmp_gt_u32_e64 s[8:9], 56, v40
	s_waitcnt lgkmcnt(0)
	v_mul_f16_e32 v21, v21, v35
	v_cndmask_b32_e32 v36, v34, v21, vcc
	v_cndmask_b32_e64 v34, 0, 1, s[4:5]
	v_lshlrev_b32_e32 v34, 2, v34
	v_add_lshl_u32 v34, v34, v17, 2
	ds_bpermute_b32 v37, v34, v36
	v_cndmask_b32_e32 v38, v35, v21, vcc
	v_add_u32_e32 v35, 4, v17
	v_cmp_le_u32_e64 s[4:5], v35, v48
	s_or_b64 s[10:11], s[6:7], vcc
	s_waitcnt lgkmcnt(0)
	v_mul_f16_e32 v42, v37, v38
	v_cndmask_b32_e64 v39, v36, v42, s[4:5]
	v_cndmask_b32_e64 v36, 0, 1, s[8:9]
	v_lshlrev_b32_e32 v36, 3, v36
	v_add_lshl_u32 v36, v36, v17, 2
	ds_bpermute_b32 v41, v36, v39
	v_cmp_gt_u32_e64 s[8:9], 48, v40
	v_cndmask_b32_e64 v45, v38, v42, s[4:5]
	v_add_u32_e32 v37, 8, v17
	v_cndmask_b32_e64 v38, 0, 1, s[8:9]
	s_waitcnt lgkmcnt(0)
	v_mul_f16_e32 v44, v41, v45
	v_cmp_le_u32_e64 s[6:7], v37, v48
	v_lshlrev_b32_e32 v38, 4, v38
	v_add_lshl_u32 v38, v38, v17, 2
	v_cndmask_b32_e64 v41, v39, v44, s[6:7]
	ds_bpermute_b32 v46, v38, v41
	s_or_b64 s[8:9], s[4:5], s[10:11]
	v_cmp_gt_u32_e64 s[10:11], 32, v40
	v_cndmask_b32_e64 v45, v45, v44, s[6:7]
	v_add_u32_e32 v39, 16, v17
	v_cndmask_b32_e64 v40, 0, 1, s[10:11]
	s_or_b64 s[24:25], s[6:7], s[8:9]
	s_waitcnt lgkmcnt(0)
	v_mul_f16_e32 v46, v46, v45
	v_cmp_le_u32_e64 s[8:9], v39, v48
	v_lshlrev_b32_e32 v40, 5, v40
	v_add_lshl_u32 v40, v40, v17, 2
	v_cndmask_b32_e64 v41, v41, v46, s[8:9]
	ds_bpermute_b32 v47, v40, v41
	v_add_u32_e32 v41, 32, v17
	s_or_b64 s[24:25], s[8:9], s[24:25]
	v_cmp_le_u32_e64 s[10:11], v41, v48
	s_or_b64 s[28:29], s[10:11], s[24:25]
	s_and_saveexec_b64 s[24:25], s[28:29]
	s_cbranch_execz .LBB84_68
; %bb.67:
	v_cndmask_b32_e32 v17, v20, v21, vcc
	v_cndmask_b32_e64 v17, v17, v42, s[4:5]
	v_cndmask_b32_e64 v17, v17, v44, s[6:7]
	v_cndmask_b32_e64 v20, v45, v46, s[8:9]
	v_cndmask_b32_e64 v17, v17, v46, s[8:9]
	s_waitcnt lgkmcnt(0)
	v_mul_f16_e32 v20, v47, v20
	v_cndmask_b32_e64 v43, v17, v20, s[10:11]
.LBB84_68:
	s_or_b64 exec, exec, s[24:25]
	v_mov_b32_e32 v17, 0
	s_branch .LBB84_70
.LBB84_69:                              ;   in Loop: Header=BB84_70 Depth=1
                                        ; implicit-def: $vgpr43
                                        ; implicit-def: $vgpr28
	s_cbranch_execnz .LBB84_78
.LBB84_70:                              ; =>This Loop Header: Depth=1
                                        ;     Child Loop BB84_73 Depth 2
	v_cmp_ne_u16_sdwa s[4:5], v28, v29 src0_sel:BYTE_0 src1_sel:DWORD
	v_mov_b32_e32 v42, v43
	s_nop 0
	v_cndmask_b32_e64 v20, 0, 1, s[4:5]
	;;#ASMSTART
	;;#ASMEND
	s_nop 0
	v_cmp_ne_u32_e32 vcc, 0, v20
	s_cmp_lg_u64 vcc, exec
	s_cbranch_scc1 .LBB84_69
; %bb.71:                               ;   in Loop: Header=BB84_70 Depth=1
	v_lshl_add_u64 v[20:21], v[16:17], 2, s[20:21]
	global_load_dword v43, v[20:21], off sc1
	s_waitcnt vmcnt(0)
	v_lshrrev_b32_e32 v28, 16, v43
	v_cmp_eq_u16_sdwa s[6:7], v28, v17 src0_sel:BYTE_0 src1_sel:DWORD
	s_and_saveexec_b64 s[4:5], s[6:7]
	s_cbranch_execz .LBB84_75
; %bb.72:                               ;   in Loop: Header=BB84_70 Depth=1
	s_mov_b64 s[6:7], 0
.LBB84_73:                              ;   Parent Loop BB84_70 Depth=1
                                        ; =>  This Inner Loop Header: Depth=2
	global_load_dword v43, v[20:21], off sc1
	s_waitcnt vmcnt(0)
	v_lshrrev_b32_e32 v28, 16, v43
	v_cmp_ne_u16_sdwa s[8:9], v28, v17 src0_sel:BYTE_0 src1_sel:DWORD
	s_or_b64 s[6:7], s[8:9], s[6:7]
	s_andn2_b64 exec, exec, s[6:7]
	s_cbranch_execnz .LBB84_73
; %bb.74:                               ;   in Loop: Header=BB84_70 Depth=1
	s_or_b64 exec, exec, s[6:7]
.LBB84_75:                              ;   in Loop: Header=BB84_70 Depth=1
	s_or_b64 exec, exec, s[4:5]
	v_cmp_eq_u16_sdwa s[4:5], v28, v29 src0_sel:BYTE_0 src1_sel:DWORD
	v_and_b32_e32 v44, 0xffff, v43
	ds_bpermute_b32 v45, v30, v44
	v_and_b32_e32 v20, s5, v19
	v_or_b32_e32 v20, 0x80000000, v20
	v_and_b32_e32 v21, s4, v18
	v_ffbl_b32_e32 v20, v20
	v_add_u32_e32 v20, 32, v20
	v_ffbl_b32_e32 v21, v21
	v_min_u32_e32 v49, v21, v20
	s_waitcnt lgkmcnt(0)
	v_mul_f16_e32 v20, v43, v45
	v_cmp_le_u32_e64 s[8:9], v31, v49
	v_cmp_le_u32_e32 vcc, v33, v49
	v_cmp_le_u32_e64 s[4:5], v35, v49
	v_cndmask_b32_e64 v44, v44, v20, s[8:9]
	ds_bpermute_b32 v21, v32, v44
	v_cndmask_b32_e64 v45, v43, v20, s[8:9]
	v_cmp_le_u32_e64 s[6:7], v37, v49
	s_or_b64 s[8:9], s[8:9], vcc
	s_or_b64 s[10:11], s[4:5], s[8:9]
	s_waitcnt lgkmcnt(0)
	v_mul_f16_e32 v21, v21, v45
	v_cndmask_b32_e32 v46, v44, v21, vcc
	ds_bpermute_b32 v44, v34, v46
	v_cndmask_b32_e32 v45, v45, v21, vcc
	v_cmp_le_u32_e64 s[8:9], v39, v49
	s_or_b64 s[10:11], s[6:7], s[10:11]
	s_or_b64 s[24:25], s[8:9], s[10:11]
	s_waitcnt lgkmcnt(0)
	v_mul_f16_e32 v44, v44, v45
	v_cndmask_b32_e64 v46, v46, v44, s[4:5]
	ds_bpermute_b32 v47, v36, v46
	v_cndmask_b32_e64 v48, v45, v44, s[4:5]
	v_cmp_le_u32_e64 s[10:11], v41, v49
	s_or_b64 s[28:29], s[10:11], s[24:25]
	s_waitcnt lgkmcnt(0)
	v_mul_f16_e32 v45, v47, v48
	v_cndmask_b32_e64 v50, v46, v45, s[6:7]
	ds_bpermute_b32 v47, v38, v50
	v_cndmask_b32_e64 v46, v48, v45, s[6:7]
	s_waitcnt lgkmcnt(0)
	v_mul_f16_e32 v47, v47, v46
	v_cndmask_b32_e64 v48, v50, v47, s[8:9]
	ds_bpermute_b32 v48, v40, v48
	s_and_saveexec_b64 s[24:25], s[28:29]
	s_cbranch_execz .LBB84_77
; %bb.76:                               ;   in Loop: Header=BB84_70 Depth=1
	v_cndmask_b32_e32 v20, v20, v21, vcc
	v_cndmask_b32_e64 v20, v20, v44, s[4:5]
	v_cndmask_b32_e64 v20, v20, v45, s[6:7]
	;; [unrolled: 1-line block ×4, first 2 shown]
	s_waitcnt lgkmcnt(0)
	v_mul_f16_e32 v21, v48, v21
	v_cndmask_b32_e64 v43, v20, v21, s[10:11]
.LBB84_77:                              ;   in Loop: Header=BB84_70 Depth=1
	s_or_b64 exec, exec, s[24:25]
	v_subrev_u32_e32 v16, 64, v16
	v_mul_f16_e32 v43, v43, v42
	s_branch .LBB84_70
.LBB84_78:
	s_and_saveexec_b64 s[4:5], s[12:13]
	s_cbranch_execz .LBB84_80
; %bb.79:
	s_add_i32 s2, s2, 64
	s_mov_b32 s3, 0
	s_lshl_b64 s[2:3], s[2:3], 2
	s_add_u32 s2, s20, s2
	v_mul_f16_e32 v17, v27, v42
	s_addc_u32 s3, s21, s3
	v_mov_b32_e32 v16, 0
	v_or_b32_e32 v17, 0x20000, v17
	global_store_dword v16, v17, s[2:3] sc1
.LBB84_80:
	s_or_b64 exec, exec, s[4:5]
	v_cmp_eq_u32_e32 vcc, 0, v0
	s_and_b64 exec, exec, vcc
	s_cbranch_execz .LBB84_82
; %bb.81:
	v_mov_b32_e32 v16, 0
	ds_write_b16 v16, v42 offset:6
.LBB84_82:
	s_or_b64 exec, exec, s[22:23]
	v_mov_b32_e32 v16, 0
	s_waitcnt lgkmcnt(0)
	s_barrier
	ds_read_u16 v16, v16 offset:6
	v_cndmask_b32_e64 v17, v26, v25, s[12:13]
	v_mul_f16_e32 v17, v10, v17
	v_cmp_eq_u32_e32 vcc, 0, v0
	s_nop 1
	v_cndmask_b32_e32 v17, v17, v10, vcc
	s_waitcnt lgkmcnt(0)
	v_mul_f16_e32 v17, v17, v16
	v_mul_f16_sdwa v16, v17, v10 dst_sel:DWORD dst_unused:UNUSED_PAD src0_sel:DWORD src1_sel:WORD_1
	v_mul_f16_e32 v18, v16, v11
	v_mul_f16_sdwa v19, v18, v11 dst_sel:DWORD dst_unused:UNUSED_PAD src0_sel:DWORD src1_sel:WORD_1
	;; [unrolled: 2-line block ×12, first 2 shown]
	s_load_dwordx4 s[4:7], s[0:1], 0x30
	s_branch .LBB84_95
.LBB84_83:
                                        ; implicit-def: $vgpr17
                                        ; implicit-def: $vgpr16
                                        ; implicit-def: $vgpr18
                                        ; implicit-def: $vgpr19
                                        ; implicit-def: $vgpr20
                                        ; implicit-def: $vgpr25
                                        ; implicit-def: $vgpr27
                                        ; implicit-def: $vgpr29
                                        ; implicit-def: $vgpr21
                                        ; implicit-def: $vgpr26
                                        ; implicit-def: $vgpr28
                                        ; implicit-def: $vgpr30
                                        ; implicit-def: $vgpr31
                                        ; implicit-def: $vgpr33
                                        ; implicit-def: $vgpr35
                                        ; implicit-def: $vgpr37
                                        ; implicit-def: $vgpr32
                                        ; implicit-def: $vgpr34
                                        ; implicit-def: $vgpr36
                                        ; implicit-def: $vgpr38
                                        ; implicit-def: $vgpr39
                                        ; implicit-def: $vgpr40
                                        ; implicit-def: $vgpr41
                                        ; implicit-def: $vgpr42
	s_load_dwordx4 s[4:7], s[0:1], 0x30
	s_cbranch_execz .LBB84_95
; %bb.84:
	s_load_dword s2, s[0:1], 0x40
	v_cmp_eq_u32_e32 vcc, 0, v0
	v_mov_b32_e32 v42, v10
	s_waitcnt lgkmcnt(0)
	s_bitcmp1_b32 s2, 0
	s_cselect_b64 s[2:3], -1, 0
	s_and_b64 s[8:9], vcc, s[2:3]
	s_and_saveexec_b64 s[2:3], s[8:9]
	s_cbranch_execz .LBB84_86
; %bb.85:
	v_mov_b32_e32 v16, 0
	global_load_ushort v16, v16, s[4:5]
	s_waitcnt vmcnt(0)
	v_mul_f16_e32 v42, v16, v10
.LBB84_86:
	s_or_b64 exec, exec, s[2:3]
	v_mul_f16_sdwa v16, v10, v42 dst_sel:DWORD dst_unused:UNUSED_PAD src0_sel:WORD_1 src1_sel:DWORD
	v_mul_f16_e32 v16, v16, v11
	v_mul_f16_sdwa v16, v16, v11 dst_sel:DWORD dst_unused:UNUSED_PAD src0_sel:DWORD src1_sel:WORD_1
	v_mul_f16_e32 v16, v16, v12
	v_mul_f16_sdwa v16, v16, v12 dst_sel:DWORD dst_unused:UNUSED_PAD src0_sel:DWORD src1_sel:WORD_1
	;; [unrolled: 2-line block ×11, first 2 shown]
	v_mbcnt_hi_u32_b32 v16, -1, v24
	v_and_b32_e32 v18, 15, v16
	v_mov_b32_dpp v19, v17 row_shr:1 row_mask:0xf bank_mask:0xf
	v_mul_f16_e32 v19, v17, v19
	v_cmp_eq_u32_e64 s[2:3], 0, v18
	s_nop 1
	v_cndmask_b32_e64 v17, v19, v17, s[2:3]
	v_and_b32_e32 v19, 0xffff, v17
	v_cmp_lt_u32_e64 s[2:3], 1, v18
	s_nop 0
	v_mov_b32_dpp v19, v19 row_shr:2 row_mask:0xf bank_mask:0xf
	v_mul_f16_e32 v19, v17, v19
	v_cndmask_b32_e64 v17, v17, v19, s[2:3]
	v_and_b32_e32 v19, 0xffff, v17
	v_cmp_lt_u32_e64 s[2:3], 3, v18
	s_nop 0
	v_mov_b32_dpp v19, v19 row_shr:4 row_mask:0xf bank_mask:0xf
	v_mul_f16_e32 v19, v17, v19
	;; [unrolled: 6-line block ×3, first 2 shown]
	v_cndmask_b32_e64 v17, v17, v19, s[2:3]
	v_and_b32_e32 v18, 0xffff, v17
	v_and_b32_e32 v19, 16, v16
	v_cmp_eq_u32_e64 s[2:3], 0, v19
	v_mov_b32_dpp v18, v18 row_bcast:15 row_mask:0xf bank_mask:0xf
	v_mul_f16_e32 v18, v17, v18
	v_cndmask_b32_e64 v17, v18, v17, s[2:3]
	v_and_b32_e32 v18, 0xffff, v17
	v_cmp_lt_u32_e64 s[2:3], 31, v16
	s_nop 0
	v_mov_b32_dpp v18, v18 row_bcast:31 row_mask:0xf bank_mask:0xf
	v_mul_f16_e32 v18, v17, v18
	v_cndmask_b32_e64 v17, v17, v18, s[2:3]
	v_cmp_eq_u32_e64 s[2:3], v23, v0
	s_and_saveexec_b64 s[4:5], s[2:3]
	s_cbranch_execz .LBB84_88
; %bb.87:
	v_lshlrev_b32_e32 v18, 1, v15
	ds_write_b16 v18, v17
.LBB84_88:
	s_or_b64 exec, exec, s[4:5]
	v_cmp_gt_u32_e64 s[2:3], 4, v0
	s_waitcnt lgkmcnt(0)
	s_barrier
	s_and_saveexec_b64 s[4:5], s[2:3]
	s_cbranch_execz .LBB84_90
; %bb.89:
	s_movk_i32 s2, 0xffd2
	v_mad_i32_i24 v18, v0, s2, v1
	ds_read_u16 v19, v18
	v_and_b32_e32 v20, 3, v16
	v_cmp_eq_u32_e64 s[2:3], 0, v20
	s_waitcnt lgkmcnt(0)
	v_and_b32_e32 v21, 0xffff, v19
	s_nop 1
	v_mov_b32_dpp v21, v21 row_shr:1 row_mask:0xf bank_mask:0xf
	v_mul_f16_e32 v21, v19, v21
	v_cndmask_b32_e64 v19, v21, v19, s[2:3]
	v_and_b32_e32 v21, 0xffff, v19
	v_cmp_lt_u32_e64 s[2:3], 1, v20
	s_nop 0
	v_mov_b32_dpp v21, v21 row_shr:2 row_mask:0xf bank_mask:0xf
	v_mul_f16_e32 v21, v19, v21
	v_cndmask_b32_e64 v19, v19, v21, s[2:3]
	ds_write_b16 v18, v19
.LBB84_90:
	s_or_b64 exec, exec, s[4:5]
	v_cmp_lt_u32_e64 s[2:3], 63, v0
	s_waitcnt lgkmcnt(0)
	s_barrier
	s_waitcnt lgkmcnt(0)
                                        ; implicit-def: $vgpr18
	s_and_saveexec_b64 s[4:5], s[2:3]
	s_cbranch_execz .LBB84_92
; %bb.91:
	v_lshl_add_u32 v15, v15, 1, -2
	ds_read_u16 v18, v15
	s_waitcnt lgkmcnt(0)
	v_mul_f16_e32 v17, v17, v18
.LBB84_92:
	s_or_b64 exec, exec, s[4:5]
	v_and_b32_e32 v15, 0xffff, v17
	v_add_u32_e32 v17, -1, v16
	v_and_b32_e32 v19, 64, v16
	v_cmp_lt_i32_e64 s[2:3], v17, v19
	s_nop 1
	v_cndmask_b32_e64 v17, v17, v16, s[2:3]
	v_lshlrev_b32_e32 v17, 2, v17
	ds_bpermute_b32 v15, v17, v15
	v_cmp_eq_u32_e64 s[2:3], 0, v16
	s_waitcnt lgkmcnt(0)
	s_nop 0
	v_cndmask_b32_e64 v15, v15, v18, s[2:3]
	v_mul_f16_e32 v17, v42, v15
	v_cndmask_b32_e32 v15, v17, v42, vcc
	v_mul_f16_sdwa v16, v15, v10 dst_sel:DWORD dst_unused:UNUSED_PAD src0_sel:DWORD src1_sel:WORD_1
	v_mul_f16_e32 v18, v16, v11
	v_mul_f16_sdwa v19, v18, v11 dst_sel:DWORD dst_unused:UNUSED_PAD src0_sel:DWORD src1_sel:WORD_1
	v_mul_f16_e32 v20, v19, v12
	;; [unrolled: 2-line block ×11, first 2 shown]
	s_and_saveexec_b64 s[2:3], vcc
	s_cbranch_execz .LBB84_94
; %bb.93:
	v_mov_b32_e32 v2, 0
	ds_read_u16 v3, v2 offset:6
	v_mov_b32_e32 v17, v42
	s_waitcnt lgkmcnt(0)
	v_or_b32_e32 v3, 0x20000, v3
	global_store_dword v2, v3, s[20:21] offset:256 sc1
.LBB84_94:
	s_or_b64 exec, exec, s[2:3]
	v_mul_f16_sdwa v42, v41, v5 dst_sel:DWORD dst_unused:UNUSED_PAD src0_sel:DWORD src1_sel:WORD_1
.LBB84_95:
	s_add_u32 s2, s14, s18
	s_addc_u32 s3, s15, s19
	s_waitcnt lgkmcnt(0)
	s_mov_b64 s[4:5], -1
	s_and_b64 vcc, exec, s[16:17]
	s_barrier
	s_cbranch_vccz .LBB84_97
; %bb.96:
	s_mov_b32 s4, 0x5040100
	v_perm_b32 v5, v29, v27, s4
	v_perm_b32 v4, v25, v20, s4
	v_perm_b32 v3, v19, v18, s4
	v_perm_b32 v2, v16, v17, s4
	ds_write_b128 v1, v[2:5]
	v_perm_b32 v5, v37, v35, s4
	v_perm_b32 v4, v33, v31, s4
	;; [unrolled: 1-line block ×4, first 2 shown]
	ds_write_b128 v1, v[2:5] offset:16
	v_perm_b32 v5, v42, v41, s4
	v_perm_b32 v4, v40, v39, s4
	;; [unrolled: 1-line block ×4, first 2 shown]
	v_mov_b32_e32 v15, 0
	ds_write_b128 v1, v[2:5] offset:32
	s_waitcnt lgkmcnt(0)
	s_barrier
	ds_read_u16 v4, v14
	ds_read_u16 v5, v14 offset:512
	ds_read_u16 v6, v14 offset:1024
	;; [unrolled: 1-line block ×23, first 2 shown]
	v_lshl_add_u64 v[2:3], s[2:3], 0, v[14:15]
	s_movk_i32 s4, 0x1000
	s_waitcnt lgkmcnt(14)
	global_store_short v14, v4, s[2:3]
	global_store_short v14, v5, s[2:3] offset:512
	global_store_short v14, v6, s[2:3] offset:1024
	;; [unrolled: 1-line block ×7, first 2 shown]
	v_add_co_u32_e32 v4, vcc, s4, v2
	s_mov_b64 s[4:5], 0
	s_nop 0
	v_addc_co_u32_e32 v5, vcc, 0, v3, vcc
	v_add_co_u32_e32 v2, vcc, 0x2000, v2
	global_store_short v[4:5], v12, off
	global_store_short v[4:5], v13, off offset:512
	s_waitcnt lgkmcnt(13)
	global_store_short v[4:5], v23, off offset:1024
	s_waitcnt lgkmcnt(12)
	;; [unrolled: 2-line block ×6, first 2 shown]
	global_store_short v[4:5], v46, off offset:3584
	v_addc_co_u32_e32 v3, vcc, 0, v3, vcc
	s_waitcnt lgkmcnt(7)
	global_store_short v[2:3], v47, off
	s_waitcnt lgkmcnt(6)
	global_store_short v[2:3], v48, off offset:512
	s_waitcnt lgkmcnt(5)
	global_store_short v[2:3], v49, off offset:1024
	;; [unrolled: 2-line block ×7, first 2 shown]
.LBB84_97:
	s_andn2_b64 vcc, exec, s[4:5]
	s_cbranch_vccnz .LBB84_154
; %bb.98:
	s_mov_b32 s4, 0x5040100
	v_perm_b32 v5, v29, v27, s4
	v_perm_b32 v4, v25, v20, s4
	;; [unrolled: 1-line block ×4, first 2 shown]
	ds_write_b128 v1, v[2:5]
	v_perm_b32 v5, v37, v35, s4
	v_perm_b32 v4, v33, v31, s4
	;; [unrolled: 1-line block ×4, first 2 shown]
	ds_write_b128 v1, v[2:5] offset:16
	v_perm_b32 v5, v42, v41, s4
	v_perm_b32 v4, v40, v39, s4
	;; [unrolled: 1-line block ×4, first 2 shown]
	s_movk_i32 s4, 0xffd2
	ds_write_b128 v1, v[2:5] offset:32
	v_mad_i32_i24 v1, v0, s4, v1
	s_waitcnt lgkmcnt(0)
	s_barrier
	ds_read_u16 v5, v1
	ds_read_u16 v4, v1 offset:512
	ds_read_u16 v7, v1 offset:1024
	;; [unrolled: 1-line block ×23, first 2 shown]
	v_mov_b32_e32 v15, 0
	v_lshl_add_u64 v[2:3], s[2:3], 0, v[14:15]
	v_cmp_gt_u32_e32 vcc, s26, v0
	s_and_saveexec_b64 s[2:3], vcc
	s_cbranch_execz .LBB84_100
; %bb.99:
	s_waitcnt lgkmcnt(14)
	global_store_short v[2:3], v5, off
.LBB84_100:
	s_or_b64 exec, exec, s[2:3]
	v_or_b32_e32 v1, 0x100, v0
	v_cmp_gt_u32_e32 vcc, s26, v1
	s_and_saveexec_b64 s[2:3], vcc
	s_cbranch_execz .LBB84_102
; %bb.101:
	s_waitcnt lgkmcnt(14)
	global_store_short v[2:3], v4, off offset:512
.LBB84_102:
	s_or_b64 exec, exec, s[2:3]
	v_or_b32_e32 v1, 0x200, v0
	v_cmp_gt_u32_e32 vcc, s26, v1
	s_and_saveexec_b64 s[2:3], vcc
	s_cbranch_execz .LBB84_104
; %bb.103:
	s_waitcnt lgkmcnt(14)
	global_store_short v[2:3], v7, off offset:1024
.LBB84_104:
	;; [unrolled: 9-line block ×7, first 2 shown]
	s_or_b64 exec, exec, s[2:3]
	v_or_b32_e32 v1, 0x800, v0
	v_cmp_gt_u32_e32 vcc, s26, v1
	s_and_saveexec_b64 s[2:3], vcc
	s_cbranch_execz .LBB84_116
; %bb.115:
	v_add_co_u32_e32 v32, vcc, 0x1000, v2
	s_nop 1
	v_addc_co_u32_e32 v33, vcc, 0, v3, vcc
	s_waitcnt lgkmcnt(14)
	global_store_short v[32:33], v18, off
.LBB84_116:
	s_or_b64 exec, exec, s[2:3]
	v_or_b32_e32 v1, 0x900, v0
	v_cmp_gt_u32_e32 vcc, s26, v1
	s_and_saveexec_b64 s[2:3], vcc
	s_cbranch_execz .LBB84_118
; %bb.117:
	v_add_co_u32_e32 v32, vcc, 0x1000, v2
	s_nop 1
	v_addc_co_u32_e32 v33, vcc, 0, v3, vcc
	s_waitcnt lgkmcnt(14)
	global_store_short v[32:33], v26, off offset:512
.LBB84_118:
	s_or_b64 exec, exec, s[2:3]
	v_or_b32_e32 v1, 0xa00, v0
	v_cmp_gt_u32_e32 vcc, s26, v1
	s_and_saveexec_b64 s[2:3], vcc
	s_cbranch_execz .LBB84_120
; %bb.119:
	v_add_co_u32_e32 v32, vcc, 0x1000, v2
	s_nop 1
	v_addc_co_u32_e32 v33, vcc, 0, v3, vcc
	s_waitcnt lgkmcnt(13)
	global_store_short v[32:33], v23, off offset:1024
.LBB84_120:
	;; [unrolled: 12-line block ×7, first 2 shown]
	s_or_b64 exec, exec, s[2:3]
	v_or_b32_e32 v1, 0x1000, v0
	v_cmp_gt_u32_e32 vcc, s26, v1
	s_and_saveexec_b64 s[2:3], vcc
	s_cbranch_execz .LBB84_132
; %bb.131:
	v_add_co_u32_e32 v32, vcc, 0x2000, v2
	s_nop 1
	v_addc_co_u32_e32 v33, vcc, 0, v3, vcc
	s_waitcnt lgkmcnt(7)
	global_store_short v[32:33], v25, off
.LBB84_132:
	s_or_b64 exec, exec, s[2:3]
	v_or_b32_e32 v1, 0x1100, v0
	v_cmp_gt_u32_e32 vcc, s26, v1
	s_and_saveexec_b64 s[2:3], vcc
	s_cbranch_execz .LBB84_134
; %bb.133:
	v_add_co_u32_e32 v32, vcc, 0x2000, v2
	s_nop 1
	v_addc_co_u32_e32 v33, vcc, 0, v3, vcc
	s_waitcnt lgkmcnt(6)
	global_store_short v[32:33], v28, off offset:512
.LBB84_134:
	s_or_b64 exec, exec, s[2:3]
	v_or_b32_e32 v1, 0x1200, v0
	v_cmp_gt_u32_e32 vcc, s26, v1
	s_and_saveexec_b64 s[2:3], vcc
	s_cbranch_execz .LBB84_136
; %bb.135:
	v_add_co_u32_e32 v32, vcc, 0x2000, v2
	s_nop 1
	v_addc_co_u32_e32 v33, vcc, 0, v3, vcc
	s_waitcnt lgkmcnt(5)
	global_store_short v[32:33], v27, off offset:1024
.LBB84_136:
	;; [unrolled: 12-line block ×7, first 2 shown]
	s_or_b64 exec, exec, s[2:3]
	s_load_dword s0, s[0:1], 0x40
	s_waitcnt lgkmcnt(0)
	s_bfe_u32 s0, s0, 0x10008
	s_cmp_eq_u32 s0, 0
	s_cbranch_scc1 .LBB84_154
; %bb.147:
	s_add_u32 s0, s26, -1
	s_addc_u32 s1, s27, -1
	s_add_u32 s2, 0, 0xaaaa0000
	s_addc_u32 s3, 0, 42
	s_add_i32 s3, s3, 0xaaaaa80
	s_mul_hi_u32 s9, s2, 0xffffffe8
	s_sub_i32 s9, s9, s2
	s_mul_i32 s10, s3, 0xffffffe8
	s_mul_i32 s4, s2, 0xffffffe8
	s_add_i32 s9, s9, s10
	s_mul_hi_u32 s5, s3, s4
	s_mul_i32 s8, s3, s4
	s_mul_i32 s11, s2, s9
	s_mul_hi_u32 s4, s2, s4
	s_mul_hi_u32 s10, s2, s9
	s_add_u32 s4, s4, s11
	s_addc_u32 s10, 0, s10
	s_add_u32 s4, s4, s8
	s_mul_hi_u32 s11, s3, s9
	s_addc_u32 s4, s10, s5
	s_addc_u32 s5, s11, 0
	s_mul_i32 s8, s3, s9
	s_add_u32 s4, s4, s8
	v_mov_b32_e32 v2, s4
	s_addc_u32 s5, 0, s5
	v_add_co_u32_e32 v2, vcc, s2, v2
	s_cmp_lg_u64 vcc, 0
	s_addc_u32 s2, s3, s5
	v_readfirstlane_b32 s5, v2
	s_mul_i32 s4, s0, s2
	s_mul_hi_u32 s8, s0, s5
	s_mul_hi_u32 s3, s0, s2
	s_add_u32 s4, s8, s4
	s_addc_u32 s3, 0, s3
	s_mul_hi_u32 s9, s1, s5
	s_mul_i32 s5, s1, s5
	s_add_u32 s4, s4, s5
	s_mul_hi_u32 s8, s1, s2
	s_addc_u32 s3, s3, s9
	s_addc_u32 s4, s8, 0
	s_mul_i32 s2, s1, s2
	s_add_u32 s2, s3, s2
	s_addc_u32 s3, 0, s4
	s_add_u32 s4, s2, 1
	s_addc_u32 s5, s3, 0
	s_add_u32 s8, s2, 2
	s_mul_i32 s10, s3, 24
	s_mul_hi_u32 s11, s2, 24
	s_addc_u32 s9, s3, 0
	s_add_i32 s11, s11, s10
	s_mul_i32 s10, s2, 24
	v_mov_b32_e32 v2, s10
	v_sub_co_u32_e32 v2, vcc, s0, v2
	s_cmp_lg_u64 vcc, 0
	s_subb_u32 s10, s1, s11
	v_subrev_co_u32_e32 v3, vcc, 24, v2
	s_cmp_lg_u64 vcc, 0
	s_subb_u32 s11, s10, 0
	v_readfirstlane_b32 s12, v3
	s_cmp_gt_u32 s12, 23
	s_cselect_b32 s12, -1, 0
	s_cmp_eq_u32 s11, 0
	s_cselect_b32 s11, s12, -1
	s_cmp_lg_u32 s11, 0
	s_cselect_b32 s4, s8, s4
	v_readfirstlane_b32 s8, v2
	s_cselect_b32 s5, s9, s5
	s_cmp_gt_u32 s8, 23
	s_cselect_b32 s8, -1, 0
	s_cmp_eq_u32 s10, 0
	s_cselect_b32 s8, s8, -1
	s_cmp_lg_u32 s8, 0
	v_mov_b32_e32 v1, v15
	s_cselect_b32 s3, s5, s3
	s_cselect_b32 s2, s4, s2
	v_cmp_eq_u64_e32 vcc, s[2:3], v[0:1]
	s_and_saveexec_b64 s[2:3], vcc
	s_cbranch_execz .LBB84_154
; %bb.148:
	v_mul_hi_u32_u24_e32 v1, 24, v0
	v_mov_b32_e32 v2, s1
	v_sub_co_u32_e32 v0, vcc, s0, v22
	s_mov_b64 s[0:1], 0
	s_nop 0
	v_subb_co_u32_e32 v1, vcc, v2, v1, vcc
	v_cmp_lt_i64_e32 vcc, 11, v[0:1]
	s_mov_b64 s[10:11], 0
	s_mov_b64 s[8:9], 0
	;; [unrolled: 1-line block ×3, first 2 shown]
	s_and_saveexec_b64 s[2:3], vcc
	s_xor_b64 s[2:3], exec, s[2:3]
	s_cbranch_execnz .LBB84_155
; %bb.149:
	s_andn2_saveexec_b64 s[2:3], s[2:3]
	s_cbranch_execnz .LBB84_200
.LBB84_150:
	s_or_b64 exec, exec, s[2:3]
	s_and_saveexec_b64 s[2:3], s[10:11]
	s_cbranch_execnz .LBB84_217
.LBB84_151:
	s_or_b64 exec, exec, s[2:3]
	s_and_saveexec_b64 s[2:3], s[8:9]
	s_cbranch_execnz .LBB84_218
.LBB84_152:
	s_or_b64 exec, exec, s[2:3]
	s_and_saveexec_b64 s[2:3], s[4:5]
	s_xor_b64 s[2:3], exec, s[2:3]
	s_cbranch_execnz .LBB84_219
.LBB84_153:
	s_or_b64 exec, exec, s[2:3]
	s_and_b64 exec, exec, s[0:1]
	s_cbranch_execnz .LBB84_220
.LBB84_154:
	s_endpgm
.LBB84_155:
	v_cmp_lt_i64_e32 vcc, 17, v[0:1]
	s_and_saveexec_b64 s[12:13], vcc
	s_xor_b64 s[12:13], exec, s[12:13]
	s_cbranch_execz .LBB84_177
; %bb.156:
	v_cmp_lt_i64_e32 vcc, 20, v[0:1]
                                        ; implicit-def: $vgpr10
	s_and_saveexec_b64 s[14:15], vcc
	s_xor_b64 s[14:15], exec, s[14:15]
	s_cbranch_execz .LBB84_166
; %bb.157:
	v_cmp_lt_i64_e32 vcc, 21, v[0:1]
	s_mov_b64 s[16:17], 0
                                        ; implicit-def: $vgpr10
	s_and_saveexec_b64 s[4:5], vcc
	s_xor_b64 s[4:5], exec, s[4:5]
	s_cbranch_execz .LBB84_163
; %bb.158:
	v_cmp_lt_i64_e32 vcc, 22, v[0:1]
	s_and_saveexec_b64 s[16:17], vcc
	s_xor_b64 s[16:17], exec, s[16:17]
	s_cbranch_execz .LBB84_160
; %bb.159:
	v_mov_b32_e32 v2, 0
	global_store_short v2, v30, s[6:7]
                                        ; implicit-def: $vgpr29
.LBB84_160:
	s_or_saveexec_b64 s[16:17], s[16:17]
	s_mov_b64 s[18:19], 0
	s_xor_b64 exec, exec, s[16:17]
; %bb.161:
	s_mov_b64 s[18:19], exec
; %bb.162:
	s_or_b64 exec, exec, s[16:17]
	s_and_b64 s[16:17], s[18:19], exec
	v_mov_b32_e32 v10, v29
                                        ; implicit-def: $vgpr11
.LBB84_163:
	s_andn2_saveexec_b64 s[4:5], s[4:5]
; %bb.164:
	s_mov_b64 s[8:9], exec
                                        ; implicit-def: $vgpr10
; %bb.165:
	s_or_b64 exec, exec, s[4:5]
	s_and_b64 s[4:5], s[16:17], exec
	s_and_b64 s[8:9], s[8:9], exec
                                        ; implicit-def: $vgpr27
                                        ; implicit-def: $vgpr12
                                        ; implicit-def: $vgpr24
.LBB84_166:
	s_andn2_saveexec_b64 s[14:15], s[14:15]
	s_cbranch_execz .LBB84_176
; %bb.167:
	v_cmp_lt_i64_e32 vcc, 18, v[0:1]
	s_mov_b64 s[16:17], 0
	s_and_saveexec_b64 s[10:11], vcc
	s_xor_b64 s[10:11], exec, s[10:11]
	s_cbranch_execz .LBB84_173
; %bb.168:
	v_cmp_lt_i64_e32 vcc, 19, v[0:1]
	s_and_saveexec_b64 s[18:19], vcc
	s_xor_b64 s[18:19], exec, s[18:19]
; %bb.169:
	s_mov_b64 s[16:17], exec
                                        ; implicit-def: $vgpr24
; %bb.170:
	s_andn2_saveexec_b64 s[18:19], s[18:19]
	s_cbranch_execz .LBB84_172
; %bb.171:
	v_mov_b32_e32 v2, 0
	global_store_short v2, v24, s[6:7]
                                        ; implicit-def: $vgpr12
.LBB84_172:
	s_or_b64 exec, exec, s[18:19]
	s_and_b64 s[16:17], s[16:17], exec
                                        ; implicit-def: $vgpr27
.LBB84_173:
	s_andn2_saveexec_b64 s[10:11], s[10:11]
	s_cbranch_execz .LBB84_175
; %bb.174:
	v_mov_b32_e32 v2, 0
	global_store_short v2, v27, s[6:7]
                                        ; implicit-def: $vgpr12
.LBB84_175:
	s_or_b64 exec, exec, s[10:11]
	s_and_b64 s[10:11], s[16:17], exec
                                        ; implicit-def: $vgpr10
                                        ; implicit-def: $vgpr11
.LBB84_176:
	s_or_b64 exec, exec, s[14:15]
	s_and_b64 s[4:5], s[4:5], exec
	s_and_b64 s[8:9], s[8:9], exec
	;; [unrolled: 1-line block ×3, first 2 shown]
                                        ; implicit-def: $vgpr20
                                        ; implicit-def: $vgpr13
                                        ; implicit-def: $vgpr16
                                        ; implicit-def: $vgpr25
                                        ; implicit-def: $vgpr28
.LBB84_177:
	s_andn2_saveexec_b64 s[12:13], s[12:13]
	s_cbranch_execz .LBB84_199
; %bb.178:
	v_cmp_lt_i64_e32 vcc, 14, v[0:1]
	s_mov_b64 s[14:15], s[4:5]
	s_and_saveexec_b64 s[16:17], vcc
	s_xor_b64 s[16:17], exec, s[16:17]
	s_cbranch_execz .LBB84_188
; %bb.179:
	v_cmp_lt_i64_e32 vcc, 15, v[0:1]
	s_and_saveexec_b64 s[14:15], vcc
	s_xor_b64 s[14:15], exec, s[14:15]
	s_cbranch_execz .LBB84_185
; %bb.180:
	v_cmp_lt_i64_e32 vcc, 16, v[0:1]
	s_and_saveexec_b64 s[18:19], vcc
	s_xor_b64 s[18:19], exec, s[18:19]
	s_cbranch_execz .LBB84_182
; %bb.181:
	v_mov_b32_e32 v2, 0
	global_store_short v2, v28, s[6:7]
                                        ; implicit-def: $vgpr25
.LBB84_182:
	s_andn2_saveexec_b64 s[18:19], s[18:19]
	s_cbranch_execz .LBB84_184
; %bb.183:
	v_mov_b32_e32 v2, 0
	global_store_short v2, v25, s[6:7]
.LBB84_184:
	s_or_b64 exec, exec, s[18:19]
                                        ; implicit-def: $vgpr10
.LBB84_185:
	s_or_saveexec_b64 s[14:15], s[14:15]
	s_mov_b64 s[18:19], s[4:5]
	s_xor_b64 exec, exec, s[14:15]
; %bb.186:
	s_or_b64 s[18:19], s[4:5], exec
; %bb.187:
	s_or_b64 exec, exec, s[14:15]
	s_andn2_b64 s[14:15], s[4:5], exec
	s_and_b64 s[18:19], s[18:19], exec
	s_or_b64 s[14:15], s[14:15], s[18:19]
                                        ; implicit-def: $vgpr20
                                        ; implicit-def: $vgpr13
                                        ; implicit-def: $vgpr16
.LBB84_188:
	s_or_saveexec_b64 s[16:17], s[16:17]
	s_mov_b64 s[18:19], s[8:9]
                                        ; implicit-def: $vgpr11
	s_xor_b64 exec, exec, s[16:17]
	s_cbranch_execz .LBB84_198
; %bb.189:
	v_cmp_lt_i64_e32 vcc, 12, v[0:1]
	s_mov_b64 s[20:21], s[8:9]
	s_mov_b64 s[22:23], s[14:15]
                                        ; implicit-def: $vgpr10
                                        ; implicit-def: $vgpr11
	s_and_saveexec_b64 s[18:19], vcc
	s_xor_b64 s[18:19], exec, s[18:19]
	s_cbranch_execz .LBB84_195
; %bb.190:
	v_cmp_lt_i64_e32 vcc, 13, v[0:1]
	s_mov_b64 s[20:21], s[14:15]
	s_and_saveexec_b64 s[22:23], vcc
	s_xor_b64 s[22:23], exec, s[22:23]
; %bb.191:
	s_or_b64 s[20:21], s[14:15], exec
                                        ; implicit-def: $vgpr13
; %bb.192:
	s_or_saveexec_b64 s[22:23], s[22:23]
	s_mov_b64 s[24:25], s[8:9]
	s_xor_b64 exec, exec, s[22:23]
; %bb.193:
	s_or_b64 s[24:25], s[8:9], exec
                                        ; implicit-def: $vgpr16
; %bb.194:
	s_or_b64 exec, exec, s[22:23]
	s_andn2_b64 s[22:23], s[14:15], exec
	s_and_b64 s[20:21], s[20:21], exec
	s_or_b64 s[22:23], s[22:23], s[20:21]
	s_andn2_b64 s[20:21], s[8:9], exec
	s_and_b64 s[24:25], s[24:25], exec
	s_or_b64 s[20:21], s[20:21], s[24:25]
	v_mov_b32_e32 v10, v16
	v_mov_b32_e32 v11, v13
                                        ; implicit-def: $vgpr20
.LBB84_195:
	s_andn2_saveexec_b64 s[18:19], s[18:19]
; %bb.196:
	s_or_b64 s[20:21], s[20:21], exec
                                        ; implicit-def: $vgpr10
	v_mov_b32_e32 v11, v20
; %bb.197:
	s_or_b64 exec, exec, s[18:19]
	s_andn2_b64 s[14:15], s[14:15], exec
	s_and_b64 s[18:19], s[22:23], exec
	s_or_b64 s[14:15], s[14:15], s[18:19]
	s_andn2_b64 s[18:19], s[8:9], exec
	s_and_b64 s[20:21], s[20:21], exec
	s_or_b64 s[18:19], s[18:19], s[20:21]
.LBB84_198:
	s_or_b64 exec, exec, s[16:17]
	s_andn2_b64 s[4:5], s[4:5], exec
	s_and_b64 s[14:15], s[14:15], exec
	s_or_b64 s[4:5], s[4:5], s[14:15]
	s_andn2_b64 s[8:9], s[8:9], exec
	s_and_b64 s[14:15], s[18:19], exec
	s_or_b64 s[8:9], s[8:9], s[14:15]
                                        ; implicit-def: $vgpr12
.LBB84_199:
	s_or_b64 exec, exec, s[12:13]
	s_and_b64 s[4:5], s[4:5], exec
	s_and_b64 s[8:9], s[8:9], exec
	;; [unrolled: 1-line block ×3, first 2 shown]
                                        ; implicit-def: $vgpr19
                                        ; implicit-def: $vgpr17
                                        ; implicit-def: $vgpr18
                                        ; implicit-def: $vgpr26
                                        ; implicit-def: $vgpr23
                                        ; implicit-def: $vgpr21
	s_andn2_saveexec_b64 s[2:3], s[2:3]
	s_cbranch_execz .LBB84_150
.LBB84_200:
	v_cmp_lt_i64_e32 vcc, 5, v[0:1]
	s_mov_b64 s[14:15], -1
	s_mov_b64 s[12:13], s[10:11]
	s_mov_b64 s[16:17], s[8:9]
	;; [unrolled: 1-line block ×3, first 2 shown]
                                        ; implicit-def: $vgpr10
                                        ; implicit-def: $vgpr11
                                        ; implicit-def: $vgpr12
	s_and_saveexec_b64 s[0:1], vcc
	s_cbranch_execz .LBB84_216
; %bb.201:
	v_cmp_lt_i64_e32 vcc, 8, v[0:1]
	s_mov_b64 s[12:13], s[10:11]
                                        ; implicit-def: $vgpr12
	s_and_saveexec_b64 s[14:15], vcc
	s_xor_b64 s[14:15], exec, s[14:15]
	s_cbranch_execz .LBB84_211
; %bb.202:
	v_cmp_lt_i64_e32 vcc, 9, v[0:1]
	s_and_saveexec_b64 s[12:13], vcc
	s_xor_b64 s[12:13], exec, s[12:13]
	s_cbranch_execz .LBB84_208
; %bb.203:
	v_cmp_lt_i64_e32 vcc, 10, v[0:1]
	s_and_saveexec_b64 s[16:17], vcc
	s_xor_b64 s[16:17], exec, s[16:17]
; %bb.204:
                                        ; implicit-def: $vgpr23
; %bb.205:
	s_andn2_saveexec_b64 s[16:17], s[16:17]
; %bb.206:
	v_mov_b32_e32 v21, v23
; %bb.207:
	s_or_b64 exec, exec, s[16:17]
                                        ; implicit-def: $vgpr26
.LBB84_208:
	s_andn2_saveexec_b64 s[12:13], s[12:13]
; %bb.209:
	v_mov_b32_e32 v21, v26
; %bb.210:
	s_or_b64 exec, exec, s[12:13]
	s_or_b64 s[12:13], s[10:11], exec
	v_mov_b32_e32 v12, v21
                                        ; implicit-def: $vgpr19
                                        ; implicit-def: $vgpr17
                                        ; implicit-def: $vgpr18
.LBB84_211:
	s_or_saveexec_b64 s[14:15], s[14:15]
	s_mov_b64 s[16:17], s[8:9]
	s_mov_b64 s[20:21], s[4:5]
                                        ; implicit-def: $vgpr10
                                        ; implicit-def: $vgpr11
	s_xor_b64 exec, exec, s[14:15]
	s_cbranch_execz .LBB84_215
; %bb.212:
	v_cmp_lt_i64_e32 vcc, 6, v[0:1]
	s_mov_b64 s[20:21], -1
	s_mov_b64 s[18:19], s[12:13]
	s_mov_b64 s[16:17], s[8:9]
	s_and_saveexec_b64 s[22:23], vcc
; %bb.213:
	v_cmp_lt_i64_e32 vcc, 7, v[0:1]
	s_andn2_b64 s[18:19], s[12:13], exec
	s_and_b64 s[24:25], vcc, exec
	s_xor_b64 s[20:21], exec, -1
	s_or_b64 s[16:17], s[8:9], exec
	s_or_b64 s[18:19], s[18:19], s[24:25]
                                        ; implicit-def: $vgpr19
; %bb.214:
	s_or_b64 exec, exec, s[22:23]
	s_andn2_b64 s[22:23], s[4:5], exec
	s_and_b64 s[20:21], s[20:21], exec
	s_or_b64 s[20:21], s[22:23], s[20:21]
	s_andn2_b64 s[22:23], s[8:9], exec
	s_and_b64 s[16:17], s[16:17], exec
	s_andn2_b64 s[12:13], s[12:13], exec
	s_and_b64 s[18:19], s[18:19], exec
	s_or_b64 s[16:17], s[22:23], s[16:17]
	s_or_b64 s[12:13], s[12:13], s[18:19]
	v_mov_b32_e32 v10, v19
	v_mov_b32_e32 v11, v17
	;; [unrolled: 1-line block ×3, first 2 shown]
.LBB84_215:
	s_or_b64 exec, exec, s[14:15]
	s_andn2_b64 s[18:19], s[4:5], exec
	s_and_b64 s[20:21], s[20:21], exec
	s_or_b64 s[18:19], s[18:19], s[20:21]
	s_andn2_b64 s[20:21], s[8:9], exec
	s_and_b64 s[16:17], s[16:17], exec
	s_or_b64 s[16:17], s[20:21], s[16:17]
	s_andn2_b64 s[20:21], s[10:11], exec
	s_and_b64 s[12:13], s[12:13], exec
	s_xor_b64 s[14:15], exec, -1
	s_or_b64 s[12:13], s[20:21], s[12:13]
.LBB84_216:
	s_or_b64 exec, exec, s[0:1]
	s_and_b64 s[0:1], s[14:15], exec
	s_andn2_b64 s[4:5], s[4:5], exec
	s_and_b64 s[14:15], s[18:19], exec
	s_or_b64 s[4:5], s[4:5], s[14:15]
	s_andn2_b64 s[8:9], s[8:9], exec
	s_and_b64 s[14:15], s[16:17], exec
	s_andn2_b64 s[10:11], s[10:11], exec
	s_and_b64 s[12:13], s[12:13], exec
	s_or_b64 s[8:9], s[8:9], s[14:15]
	s_or_b64 s[10:11], s[10:11], s[12:13]
	s_or_b64 exec, exec, s[2:3]
	s_and_saveexec_b64 s[2:3], s[10:11]
	s_cbranch_execz .LBB84_151
.LBB84_217:
	v_mov_b32_e32 v2, 0
	s_andn2_b64 s[8:9], s[8:9], exec
	global_store_short v2, v12, s[6:7]
                                        ; implicit-def: $vgpr10
                                        ; implicit-def: $vgpr11
	s_or_b64 exec, exec, s[2:3]
	s_and_saveexec_b64 s[2:3], s[8:9]
	s_cbranch_execz .LBB84_152
.LBB84_218:
	v_mov_b32_e32 v2, 0
	global_store_short v2, v11, s[6:7]
                                        ; implicit-def: $vgpr10
	s_or_b64 exec, exec, s[2:3]
	s_and_saveexec_b64 s[2:3], s[4:5]
	s_xor_b64 s[2:3], exec, s[2:3]
	s_cbranch_execz .LBB84_153
.LBB84_219:
	v_mov_b32_e32 v2, 0
	global_store_short v2, v10, s[6:7]
	s_or_b64 exec, exec, s[2:3]
	s_and_b64 exec, exec, s[0:1]
	s_cbranch_execz .LBB84_154
.LBB84_220:
	v_cmp_lt_i64_e32 vcc, 2, v[0:1]
	s_and_saveexec_b64 s[0:1], vcc
	s_xor_b64 s[0:1], exec, s[0:1]
	s_cbranch_execz .LBB84_230
; %bb.221:
	v_cmp_lt_i64_e32 vcc, 3, v[0:1]
	s_and_saveexec_b64 s[2:3], vcc
	s_xor_b64 s[2:3], exec, s[2:3]
	s_cbranch_execz .LBB84_227
; %bb.222:
	;; [unrolled: 5-line block ×3, first 2 shown]
	v_mov_b32_e32 v0, 0
	global_store_short v0, v9, s[6:7]
                                        ; implicit-def: $vgpr6
.LBB84_224:
	s_andn2_saveexec_b64 s[4:5], s[4:5]
	s_cbranch_execz .LBB84_226
; %bb.225:
	v_mov_b32_e32 v0, 0
	global_store_short v0, v6, s[6:7]
.LBB84_226:
	s_or_b64 exec, exec, s[4:5]
                                        ; implicit-def: $vgpr8
.LBB84_227:
	s_andn2_saveexec_b64 s[2:3], s[2:3]
	s_cbranch_execz .LBB84_229
; %bb.228:
	v_mov_b32_e32 v0, 0
	global_store_short v0, v8, s[6:7]
.LBB84_229:
	s_or_b64 exec, exec, s[2:3]
                                        ; implicit-def: $vgpr0_vgpr1
                                        ; implicit-def: $vgpr7
                                        ; implicit-def: $vgpr4
                                        ; implicit-def: $vgpr5
.LBB84_230:
	s_andn2_saveexec_b64 s[0:1], s[0:1]
	s_cbranch_execz .LBB84_154
; %bb.231:
	v_cmp_lt_i64_e32 vcc, 1, v[0:1]
	s_and_saveexec_b64 s[0:1], vcc
	s_xor_b64 s[0:1], exec, s[0:1]
	s_cbranch_execz .LBB84_233
; %bb.232:
	v_mov_b32_e32 v0, 0
	global_store_short v0, v7, s[6:7]
                                        ; implicit-def: $vgpr4
                                        ; implicit-def: $vgpr0_vgpr1
                                        ; implicit-def: $vgpr5
.LBB84_233:
	s_andn2_saveexec_b64 s[0:1], s[0:1]
	s_cbranch_execz .LBB84_154
; %bb.234:
	v_cmp_ne_u64_e32 vcc, 1, v[0:1]
	s_and_saveexec_b64 s[0:1], vcc
	s_xor_b64 s[0:1], exec, s[0:1]
	s_cbranch_execz .LBB84_236
; %bb.235:
	v_mov_b32_e32 v0, 0
	global_store_short v0, v5, s[6:7]
                                        ; implicit-def: $vgpr4
.LBB84_236:
	s_andn2_saveexec_b64 s[0:1], s[0:1]
	s_cbranch_execz .LBB84_154
; %bb.237:
	v_mov_b32_e32 v0, 0
	global_store_short v0, v4, s[6:7]
	s_endpgm
	.section	.rodata,"a",@progbits
	.p2align	6, 0x0
	.amdhsa_kernel _ZN7rocprim17ROCPRIM_304000_NS6detail20lookback_scan_kernelILNS1_25lookback_scan_determinismE0ELb0ENS1_19wrapped_scan_configINS0_14default_configEN3c104HalfEEEPKS7_PS7_St10multipliesIS7_ES7_S7_NS1_19lookback_scan_stateIS7_Lb0ELb1EEEEEvT2_T3_mT5_T4_T7_jPT6_SM_bb
		.amdhsa_group_segment_fixed_size 12288
		.amdhsa_private_segment_fixed_size 0
		.amdhsa_kernarg_size 68
		.amdhsa_user_sgpr_count 2
		.amdhsa_user_sgpr_dispatch_ptr 0
		.amdhsa_user_sgpr_queue_ptr 0
		.amdhsa_user_sgpr_kernarg_segment_ptr 1
		.amdhsa_user_sgpr_dispatch_id 0
		.amdhsa_user_sgpr_kernarg_preload_length 0
		.amdhsa_user_sgpr_kernarg_preload_offset 0
		.amdhsa_user_sgpr_private_segment_size 0
		.amdhsa_uses_dynamic_stack 0
		.amdhsa_enable_private_segment 0
		.amdhsa_system_sgpr_workgroup_id_x 1
		.amdhsa_system_sgpr_workgroup_id_y 0
		.amdhsa_system_sgpr_workgroup_id_z 0
		.amdhsa_system_sgpr_workgroup_info 0
		.amdhsa_system_vgpr_workitem_id 0
		.amdhsa_next_free_vgpr 55
		.amdhsa_next_free_sgpr 30
		.amdhsa_accum_offset 56
		.amdhsa_reserve_vcc 1
		.amdhsa_float_round_mode_32 0
		.amdhsa_float_round_mode_16_64 0
		.amdhsa_float_denorm_mode_32 3
		.amdhsa_float_denorm_mode_16_64 3
		.amdhsa_dx10_clamp 1
		.amdhsa_ieee_mode 1
		.amdhsa_fp16_overflow 0
		.amdhsa_tg_split 0
		.amdhsa_exception_fp_ieee_invalid_op 0
		.amdhsa_exception_fp_denorm_src 0
		.amdhsa_exception_fp_ieee_div_zero 0
		.amdhsa_exception_fp_ieee_overflow 0
		.amdhsa_exception_fp_ieee_underflow 0
		.amdhsa_exception_fp_ieee_inexact 0
		.amdhsa_exception_int_div_zero 0
	.end_amdhsa_kernel
	.section	.text._ZN7rocprim17ROCPRIM_304000_NS6detail20lookback_scan_kernelILNS1_25lookback_scan_determinismE0ELb0ENS1_19wrapped_scan_configINS0_14default_configEN3c104HalfEEEPKS7_PS7_St10multipliesIS7_ES7_S7_NS1_19lookback_scan_stateIS7_Lb0ELb1EEEEEvT2_T3_mT5_T4_T7_jPT6_SM_bb,"axG",@progbits,_ZN7rocprim17ROCPRIM_304000_NS6detail20lookback_scan_kernelILNS1_25lookback_scan_determinismE0ELb0ENS1_19wrapped_scan_configINS0_14default_configEN3c104HalfEEEPKS7_PS7_St10multipliesIS7_ES7_S7_NS1_19lookback_scan_stateIS7_Lb0ELb1EEEEEvT2_T3_mT5_T4_T7_jPT6_SM_bb,comdat
.Lfunc_end84:
	.size	_ZN7rocprim17ROCPRIM_304000_NS6detail20lookback_scan_kernelILNS1_25lookback_scan_determinismE0ELb0ENS1_19wrapped_scan_configINS0_14default_configEN3c104HalfEEEPKS7_PS7_St10multipliesIS7_ES7_S7_NS1_19lookback_scan_stateIS7_Lb0ELb1EEEEEvT2_T3_mT5_T4_T7_jPT6_SM_bb, .Lfunc_end84-_ZN7rocprim17ROCPRIM_304000_NS6detail20lookback_scan_kernelILNS1_25lookback_scan_determinismE0ELb0ENS1_19wrapped_scan_configINS0_14default_configEN3c104HalfEEEPKS7_PS7_St10multipliesIS7_ES7_S7_NS1_19lookback_scan_stateIS7_Lb0ELb1EEEEEvT2_T3_mT5_T4_T7_jPT6_SM_bb
                                        ; -- End function
	.section	.AMDGPU.csdata,"",@progbits
; Kernel info:
; codeLenInByte = 8836
; NumSgprs: 36
; NumVgprs: 55
; NumAgprs: 0
; TotalNumVgprs: 55
; ScratchSize: 0
; MemoryBound: 0
; FloatMode: 240
; IeeeMode: 1
; LDSByteSize: 12288 bytes/workgroup (compile time only)
; SGPRBlocks: 4
; VGPRBlocks: 6
; NumSGPRsForWavesPerEU: 36
; NumVGPRsForWavesPerEU: 55
; AccumOffset: 56
; Occupancy: 5
; WaveLimiterHint : 1
; COMPUTE_PGM_RSRC2:SCRATCH_EN: 0
; COMPUTE_PGM_RSRC2:USER_SGPR: 2
; COMPUTE_PGM_RSRC2:TRAP_HANDLER: 0
; COMPUTE_PGM_RSRC2:TGID_X_EN: 1
; COMPUTE_PGM_RSRC2:TGID_Y_EN: 0
; COMPUTE_PGM_RSRC2:TGID_Z_EN: 0
; COMPUTE_PGM_RSRC2:TIDIG_COMP_CNT: 0
; COMPUTE_PGM_RSRC3_GFX90A:ACCUM_OFFSET: 13
; COMPUTE_PGM_RSRC3_GFX90A:TG_SPLIT: 0
	.section	.text._ZN7rocprim17ROCPRIM_304000_NS6detail16transform_kernelINS1_24wrapped_transform_configINS0_14default_configEN3c104HalfEEES6_PS6_S8_NS0_8identityIS6_EEEEvT1_mT2_T3_,"axG",@progbits,_ZN7rocprim17ROCPRIM_304000_NS6detail16transform_kernelINS1_24wrapped_transform_configINS0_14default_configEN3c104HalfEEES6_PS6_S8_NS0_8identityIS6_EEEEvT1_mT2_T3_,comdat
	.protected	_ZN7rocprim17ROCPRIM_304000_NS6detail16transform_kernelINS1_24wrapped_transform_configINS0_14default_configEN3c104HalfEEES6_PS6_S8_NS0_8identityIS6_EEEEvT1_mT2_T3_ ; -- Begin function _ZN7rocprim17ROCPRIM_304000_NS6detail16transform_kernelINS1_24wrapped_transform_configINS0_14default_configEN3c104HalfEEES6_PS6_S8_NS0_8identityIS6_EEEEvT1_mT2_T3_
	.globl	_ZN7rocprim17ROCPRIM_304000_NS6detail16transform_kernelINS1_24wrapped_transform_configINS0_14default_configEN3c104HalfEEES6_PS6_S8_NS0_8identityIS6_EEEEvT1_mT2_T3_
	.p2align	8
	.type	_ZN7rocprim17ROCPRIM_304000_NS6detail16transform_kernelINS1_24wrapped_transform_configINS0_14default_configEN3c104HalfEEES6_PS6_S8_NS0_8identityIS6_EEEEvT1_mT2_T3_,@function
_ZN7rocprim17ROCPRIM_304000_NS6detail16transform_kernelINS1_24wrapped_transform_configINS0_14default_configEN3c104HalfEEES6_PS6_S8_NS0_8identityIS6_EEEEvT1_mT2_T3_: ; @_ZN7rocprim17ROCPRIM_304000_NS6detail16transform_kernelINS1_24wrapped_transform_configINS0_14default_configEN3c104HalfEEES6_PS6_S8_NS0_8identityIS6_EEEEvT1_mT2_T3_
; %bb.0:
	s_load_dword s3, s[0:1], 0x20
	s_load_dwordx4 s[4:7], s[0:1], 0x0
	s_load_dwordx2 s[12:13], s[0:1], 0x10
	s_lshl_b32 s0, s2, 11
	s_mov_b32 s1, 0
	s_waitcnt lgkmcnt(0)
	s_add_i32 s3, s3, -1
	s_lshl_b64 s[14:15], s[0:1], 1
	s_add_u32 s4, s4, s14
	s_addc_u32 s5, s5, s15
	v_mov_b32_e32 v3, 0
	v_lshlrev_b32_e32 v2, 1, v0
	s_cmp_lg_u32 s2, s3
	v_lshl_add_u64 v[4:5], s[4:5], 0, v[2:3]
	s_cbranch_scc0 .LBB85_2
; %bb.1:
	global_load_ushort v1, v[4:5], off
	global_load_ushort v3, v[4:5], off offset:512
	global_load_ushort v7, v[4:5], off offset:1024
	;; [unrolled: 1-line block ×7, first 2 shown]
	s_add_u32 s4, s12, s14
	s_addc_u32 s5, s13, s15
	s_mov_b64 s[16:17], -1
	s_waitcnt vmcnt(7)
	global_store_short v2, v1, s[4:5]
	s_waitcnt vmcnt(7)
	global_store_short v2, v3, s[4:5] offset:512
	s_waitcnt vmcnt(7)
	global_store_short v2, v7, s[4:5] offset:1024
	;; [unrolled: 2-line block ×6, first 2 shown]
	s_cbranch_execz .LBB85_3
	s_branch .LBB85_28
.LBB85_2:
	s_mov_b64 s[16:17], 0
                                        ; implicit-def: $vgpr6
.LBB85_3:
	s_sub_i32 s18, s6, s0
	v_cmp_gt_u32_e32 vcc, s18, v0
                                        ; implicit-def: $vgpr7
	s_and_saveexec_b64 s[0:1], vcc
	s_cbranch_execz .LBB85_5
; %bb.4:
	global_load_ushort v7, v[4:5], off
.LBB85_5:
	s_or_b64 exec, exec, s[0:1]
	v_or_b32_e32 v1, 0x100, v0
	v_cmp_gt_u32_e64 s[0:1], s18, v1
                                        ; implicit-def: $vgpr8
	s_and_saveexec_b64 s[2:3], s[0:1]
	s_cbranch_execz .LBB85_7
; %bb.6:
	global_load_ushort v8, v[4:5], off offset:512
.LBB85_7:
	s_or_b64 exec, exec, s[2:3]
	v_or_b32_e32 v1, 0x200, v0
	v_cmp_gt_u32_e64 s[2:3], s18, v1
                                        ; implicit-def: $vgpr9
	s_and_saveexec_b64 s[4:5], s[2:3]
	s_cbranch_execz .LBB85_9
; %bb.8:
	global_load_ushort v9, v[4:5], off offset:1024
.LBB85_9:
	s_or_b64 exec, exec, s[4:5]
	v_or_b32_e32 v1, 0x300, v0
	v_cmp_gt_u32_e64 s[4:5], s18, v1
                                        ; implicit-def: $vgpr10
	s_and_saveexec_b64 s[6:7], s[4:5]
	s_cbranch_execz .LBB85_11
; %bb.10:
	global_load_ushort v10, v[4:5], off offset:1536
.LBB85_11:
	s_or_b64 exec, exec, s[6:7]
	v_or_b32_e32 v1, 0x400, v0
	v_cmp_gt_u32_e64 s[6:7], s18, v1
                                        ; implicit-def: $vgpr11
	s_and_saveexec_b64 s[8:9], s[6:7]
	s_cbranch_execz .LBB85_13
; %bb.12:
	global_load_ushort v11, v[4:5], off offset:2048
.LBB85_13:
	s_or_b64 exec, exec, s[8:9]
	v_or_b32_e32 v1, 0x500, v0
	v_cmp_gt_u32_e64 s[8:9], s18, v1
                                        ; implicit-def: $vgpr12
	s_and_saveexec_b64 s[10:11], s[8:9]
	s_cbranch_execz .LBB85_15
; %bb.14:
	global_load_ushort v12, v[4:5], off offset:2560
.LBB85_15:
	s_or_b64 exec, exec, s[10:11]
	v_or_b32_e32 v1, 0x600, v0
	v_cmp_gt_u32_e64 s[10:11], s18, v1
                                        ; implicit-def: $vgpr13
	s_and_saveexec_b64 s[16:17], s[10:11]
	s_cbranch_execz .LBB85_17
; %bb.16:
	global_load_ushort v13, v[4:5], off offset:3072
.LBB85_17:
	s_or_b64 exec, exec, s[16:17]
	v_or_b32_e32 v0, 0x700, v0
	v_cmp_gt_u32_e64 s[16:17], s18, v0
                                        ; implicit-def: $vgpr6
	s_and_saveexec_b64 s[18:19], s[16:17]
	s_cbranch_execz .LBB85_19
; %bb.18:
	global_load_ushort v6, v[4:5], off offset:3584
.LBB85_19:
	s_or_b64 exec, exec, s[18:19]
	s_add_u32 s18, s12, s14
	s_addc_u32 s19, s13, s15
	v_mov_b32_e32 v3, 0
	v_lshl_add_u64 v[0:1], s[18:19], 0, v[2:3]
	s_and_saveexec_b64 s[18:19], vcc
	s_xor_b64 s[18:19], exec, s[18:19]
	s_cbranch_execnz .LBB85_31
; %bb.20:
	s_or_b64 exec, exec, s[18:19]
	s_and_saveexec_b64 s[18:19], s[0:1]
	s_cbranch_execnz .LBB85_32
.LBB85_21:
	s_or_b64 exec, exec, s[18:19]
	s_and_saveexec_b64 s[0:1], s[2:3]
	s_cbranch_execnz .LBB85_33
.LBB85_22:
	s_or_b64 exec, exec, s[0:1]
	s_and_saveexec_b64 s[0:1], s[4:5]
	s_cbranch_execnz .LBB85_34
.LBB85_23:
	s_or_b64 exec, exec, s[0:1]
	s_and_saveexec_b64 s[0:1], s[6:7]
	s_cbranch_execnz .LBB85_35
.LBB85_24:
	s_or_b64 exec, exec, s[0:1]
	s_and_saveexec_b64 s[0:1], s[8:9]
	s_cbranch_execnz .LBB85_36
.LBB85_25:
	s_or_b64 exec, exec, s[0:1]
	s_and_saveexec_b64 s[0:1], s[10:11]
	s_cbranch_execz .LBB85_27
.LBB85_26:
	s_waitcnt vmcnt(0)
	global_store_short v[0:1], v13, off offset:3072
.LBB85_27:
	s_or_b64 exec, exec, s[0:1]
.LBB85_28:
	s_and_saveexec_b64 s[0:1], s[16:17]
	s_cbranch_execnz .LBB85_30
; %bb.29:
	s_endpgm
.LBB85_30:
	s_add_u32 s0, s12, s14
	s_addc_u32 s1, s13, s15
	s_waitcnt vmcnt(0)
	global_store_short v2, v6, s[0:1] offset:3584
	s_endpgm
.LBB85_31:
	s_waitcnt vmcnt(0)
	global_store_short v[0:1], v7, off
	s_or_b64 exec, exec, s[18:19]
	s_and_saveexec_b64 s[18:19], s[0:1]
	s_cbranch_execz .LBB85_21
.LBB85_32:
	s_waitcnt vmcnt(0)
	global_store_short v[0:1], v8, off offset:512
	s_or_b64 exec, exec, s[18:19]
	s_and_saveexec_b64 s[0:1], s[2:3]
	s_cbranch_execz .LBB85_22
.LBB85_33:
	s_waitcnt vmcnt(0)
	global_store_short v[0:1], v9, off offset:1024
	s_or_b64 exec, exec, s[0:1]
	s_and_saveexec_b64 s[0:1], s[4:5]
	s_cbranch_execz .LBB85_23
.LBB85_34:
	s_waitcnt vmcnt(0)
	global_store_short v[0:1], v10, off offset:1536
	s_or_b64 exec, exec, s[0:1]
	s_and_saveexec_b64 s[0:1], s[6:7]
	s_cbranch_execz .LBB85_24
.LBB85_35:
	s_waitcnt vmcnt(0)
	global_store_short v[0:1], v11, off offset:2048
	s_or_b64 exec, exec, s[0:1]
	s_and_saveexec_b64 s[0:1], s[8:9]
	s_cbranch_execz .LBB85_25
.LBB85_36:
	s_waitcnt vmcnt(0)
	global_store_short v[0:1], v12, off offset:2560
	s_or_b64 exec, exec, s[0:1]
	s_and_saveexec_b64 s[0:1], s[10:11]
	s_cbranch_execnz .LBB85_26
	s_branch .LBB85_27
	.section	.rodata,"a",@progbits
	.p2align	6, 0x0
	.amdhsa_kernel _ZN7rocprim17ROCPRIM_304000_NS6detail16transform_kernelINS1_24wrapped_transform_configINS0_14default_configEN3c104HalfEEES6_PS6_S8_NS0_8identityIS6_EEEEvT1_mT2_T3_
		.amdhsa_group_segment_fixed_size 0
		.amdhsa_private_segment_fixed_size 0
		.amdhsa_kernarg_size 288
		.amdhsa_user_sgpr_count 2
		.amdhsa_user_sgpr_dispatch_ptr 0
		.amdhsa_user_sgpr_queue_ptr 0
		.amdhsa_user_sgpr_kernarg_segment_ptr 1
		.amdhsa_user_sgpr_dispatch_id 0
		.amdhsa_user_sgpr_kernarg_preload_length 0
		.amdhsa_user_sgpr_kernarg_preload_offset 0
		.amdhsa_user_sgpr_private_segment_size 0
		.amdhsa_uses_dynamic_stack 0
		.amdhsa_enable_private_segment 0
		.amdhsa_system_sgpr_workgroup_id_x 1
		.amdhsa_system_sgpr_workgroup_id_y 0
		.amdhsa_system_sgpr_workgroup_id_z 0
		.amdhsa_system_sgpr_workgroup_info 0
		.amdhsa_system_vgpr_workitem_id 0
		.amdhsa_next_free_vgpr 14
		.amdhsa_next_free_sgpr 20
		.amdhsa_accum_offset 16
		.amdhsa_reserve_vcc 1
		.amdhsa_float_round_mode_32 0
		.amdhsa_float_round_mode_16_64 0
		.amdhsa_float_denorm_mode_32 3
		.amdhsa_float_denorm_mode_16_64 3
		.amdhsa_dx10_clamp 1
		.amdhsa_ieee_mode 1
		.amdhsa_fp16_overflow 0
		.amdhsa_tg_split 0
		.amdhsa_exception_fp_ieee_invalid_op 0
		.amdhsa_exception_fp_denorm_src 0
		.amdhsa_exception_fp_ieee_div_zero 0
		.amdhsa_exception_fp_ieee_overflow 0
		.amdhsa_exception_fp_ieee_underflow 0
		.amdhsa_exception_fp_ieee_inexact 0
		.amdhsa_exception_int_div_zero 0
	.end_amdhsa_kernel
	.section	.text._ZN7rocprim17ROCPRIM_304000_NS6detail16transform_kernelINS1_24wrapped_transform_configINS0_14default_configEN3c104HalfEEES6_PS6_S8_NS0_8identityIS6_EEEEvT1_mT2_T3_,"axG",@progbits,_ZN7rocprim17ROCPRIM_304000_NS6detail16transform_kernelINS1_24wrapped_transform_configINS0_14default_configEN3c104HalfEEES6_PS6_S8_NS0_8identityIS6_EEEEvT1_mT2_T3_,comdat
.Lfunc_end85:
	.size	_ZN7rocprim17ROCPRIM_304000_NS6detail16transform_kernelINS1_24wrapped_transform_configINS0_14default_configEN3c104HalfEEES6_PS6_S8_NS0_8identityIS6_EEEEvT1_mT2_T3_, .Lfunc_end85-_ZN7rocprim17ROCPRIM_304000_NS6detail16transform_kernelINS1_24wrapped_transform_configINS0_14default_configEN3c104HalfEEES6_PS6_S8_NS0_8identityIS6_EEEEvT1_mT2_T3_
                                        ; -- End function
	.section	.AMDGPU.csdata,"",@progbits
; Kernel info:
; codeLenInByte = 832
; NumSgprs: 26
; NumVgprs: 14
; NumAgprs: 0
; TotalNumVgprs: 14
; ScratchSize: 0
; MemoryBound: 0
; FloatMode: 240
; IeeeMode: 1
; LDSByteSize: 0 bytes/workgroup (compile time only)
; SGPRBlocks: 3
; VGPRBlocks: 1
; NumSGPRsForWavesPerEU: 26
; NumVGPRsForWavesPerEU: 14
; AccumOffset: 16
; Occupancy: 8
; WaveLimiterHint : 1
; COMPUTE_PGM_RSRC2:SCRATCH_EN: 0
; COMPUTE_PGM_RSRC2:USER_SGPR: 2
; COMPUTE_PGM_RSRC2:TRAP_HANDLER: 0
; COMPUTE_PGM_RSRC2:TGID_X_EN: 1
; COMPUTE_PGM_RSRC2:TGID_Y_EN: 0
; COMPUTE_PGM_RSRC2:TGID_Z_EN: 0
; COMPUTE_PGM_RSRC2:TIDIG_COMP_CNT: 0
; COMPUTE_PGM_RSRC3_GFX90A:ACCUM_OFFSET: 3
; COMPUTE_PGM_RSRC3_GFX90A:TG_SPLIT: 0
	.section	.text._ZN7rocprim17ROCPRIM_304000_NS6detail18single_scan_kernelILb0ENS1_19wrapped_scan_configINS0_14default_configEN3c104HalfEEEPKS6_PS6_St10multipliesIS6_ES6_S6_EEvT1_mT4_T2_T3_,"axG",@progbits,_ZN7rocprim17ROCPRIM_304000_NS6detail18single_scan_kernelILb0ENS1_19wrapped_scan_configINS0_14default_configEN3c104HalfEEEPKS6_PS6_St10multipliesIS6_ES6_S6_EEvT1_mT4_T2_T3_,comdat
	.protected	_ZN7rocprim17ROCPRIM_304000_NS6detail18single_scan_kernelILb0ENS1_19wrapped_scan_configINS0_14default_configEN3c104HalfEEEPKS6_PS6_St10multipliesIS6_ES6_S6_EEvT1_mT4_T2_T3_ ; -- Begin function _ZN7rocprim17ROCPRIM_304000_NS6detail18single_scan_kernelILb0ENS1_19wrapped_scan_configINS0_14default_configEN3c104HalfEEEPKS6_PS6_St10multipliesIS6_ES6_S6_EEvT1_mT4_T2_T3_
	.globl	_ZN7rocprim17ROCPRIM_304000_NS6detail18single_scan_kernelILb0ENS1_19wrapped_scan_configINS0_14default_configEN3c104HalfEEEPKS6_PS6_St10multipliesIS6_ES6_S6_EEvT1_mT4_T2_T3_
	.p2align	8
	.type	_ZN7rocprim17ROCPRIM_304000_NS6detail18single_scan_kernelILb0ENS1_19wrapped_scan_configINS0_14default_configEN3c104HalfEEEPKS6_PS6_St10multipliesIS6_ES6_S6_EEvT1_mT4_T2_T3_,@function
_ZN7rocprim17ROCPRIM_304000_NS6detail18single_scan_kernelILb0ENS1_19wrapped_scan_configINS0_14default_configEN3c104HalfEEEPKS6_PS6_St10multipliesIS6_ES6_S6_EEvT1_mT4_T2_T3_: ; @_ZN7rocprim17ROCPRIM_304000_NS6detail18single_scan_kernelILb0ENS1_19wrapped_scan_configINS0_14default_configEN3c104HalfEEEPKS6_PS6_St10multipliesIS6_ES6_S6_EEvT1_mT4_T2_T3_
; %bb.0:
	s_load_dwordx4 s[48:51], s[0:1], 0x0
	v_mov_b32_e32 v15, 0
	v_lshlrev_b32_e32 v14, 1, v0
	s_waitcnt lgkmcnt(0)
	global_load_ushort v1, v15, s[48:49]
	v_lshl_add_u64 v[2:3], s[48:49], 0, v[14:15]
	v_cmp_gt_u32_e64 s[40:41], s50, v0
	s_waitcnt vmcnt(0)
	v_mov_b32_e32 v4, v1
	s_and_saveexec_b64 s[2:3], s[40:41]
	s_cbranch_execz .LBB86_2
; %bb.1:
	global_load_ushort v4, v[2:3], off
.LBB86_2:
	s_or_b64 exec, exec, s[2:3]
	v_or_b32_e32 v5, 0x100, v0
	v_cmp_gt_u32_e64 s[2:3], s50, v5
	v_mov_b32_e32 v5, v1
	s_and_saveexec_b64 s[4:5], s[2:3]
	s_cbranch_execz .LBB86_4
; %bb.3:
	global_load_ushort v5, v[2:3], off offset:512
.LBB86_4:
	s_or_b64 exec, exec, s[4:5]
	v_or_b32_e32 v6, 0x200, v0
	v_cmp_gt_u32_e64 s[4:5], s50, v6
	v_mov_b32_e32 v6, v1
	s_and_saveexec_b64 s[6:7], s[4:5]
	s_cbranch_execz .LBB86_6
; %bb.5:
	global_load_ushort v6, v[2:3], off offset:1024
.LBB86_6:
	;; [unrolled: 9-line block ×7, first 2 shown]
	s_or_b64 exec, exec, s[16:17]
	v_or_b32_e32 v12, 0x800, v0
	v_cmp_gt_u32_e64 s[16:17], s50, v12
	v_mov_b32_e32 v12, v1
	s_and_saveexec_b64 s[18:19], s[16:17]
	s_cbranch_execz .LBB86_18
; %bb.17:
	v_add_co_u32_e32 v12, vcc, 0x1000, v2
	s_nop 1
	v_addc_co_u32_e32 v13, vcc, 0, v3, vcc
	global_load_ushort v12, v[12:13], off
.LBB86_18:
	s_or_b64 exec, exec, s[18:19]
	v_or_b32_e32 v13, 0x900, v0
	v_cmp_gt_u32_e64 s[18:19], s50, v13
	v_mov_b32_e32 v13, v1
	s_and_saveexec_b64 s[20:21], s[18:19]
	s_cbranch_execz .LBB86_20
; %bb.19:
	v_add_co_u32_e32 v16, vcc, 0x1000, v2
	s_nop 1
	v_addc_co_u32_e32 v17, vcc, 0, v3, vcc
	global_load_ushort v13, v[16:17], off offset:512
.LBB86_20:
	s_or_b64 exec, exec, s[20:21]
	v_or_b32_e32 v15, 0xa00, v0
	v_cmp_gt_u32_e64 s[20:21], s50, v15
	v_mov_b32_e32 v15, v1
	s_and_saveexec_b64 s[22:23], s[20:21]
	s_cbranch_execz .LBB86_22
; %bb.21:
	v_add_co_u32_e32 v16, vcc, 0x1000, v2
	s_nop 1
	v_addc_co_u32_e32 v17, vcc, 0, v3, vcc
	global_load_ushort v15, v[16:17], off offset:1024
.LBB86_22:
	;; [unrolled: 12-line block ×7, first 2 shown]
	s_or_b64 exec, exec, s[34:35]
	v_or_b32_e32 v21, 0x1000, v0
	v_cmp_gt_u32_e64 s[34:35], s50, v21
	v_mov_b32_e32 v21, v1
	s_and_saveexec_b64 s[36:37], s[34:35]
	s_cbranch_execz .LBB86_34
; %bb.33:
	v_add_co_u32_e32 v22, vcc, 0x2000, v2
	s_nop 1
	v_addc_co_u32_e32 v23, vcc, 0, v3, vcc
	global_load_ushort v21, v[22:23], off
.LBB86_34:
	s_or_b64 exec, exec, s[36:37]
	v_or_b32_e32 v22, 0x1100, v0
	v_cmp_gt_u32_e64 s[36:37], s50, v22
	v_mov_b32_e32 v22, v1
	s_and_saveexec_b64 s[38:39], s[36:37]
	s_cbranch_execz .LBB86_36
; %bb.35:
	v_add_co_u32_e32 v22, vcc, 0x2000, v2
	s_nop 1
	v_addc_co_u32_e32 v23, vcc, 0, v3, vcc
	global_load_ushort v22, v[22:23], off offset:512
.LBB86_36:
	s_or_b64 exec, exec, s[38:39]
	v_or_b32_e32 v23, 0x1200, v0
	v_cmp_gt_u32_e64 s[38:39], s50, v23
	v_mov_b32_e32 v23, v1
	s_and_saveexec_b64 s[42:43], s[38:39]
	s_cbranch_execz .LBB86_38
; %bb.37:
	v_add_co_u32_e32 v24, vcc, 0x2000, v2
	s_nop 1
	v_addc_co_u32_e32 v25, vcc, 0, v3, vcc
	global_load_ushort v23, v[24:25], off offset:1024
.LBB86_38:
	;; [unrolled: 12-line block ×6, first 2 shown]
	s_or_b64 exec, exec, s[52:53]
	v_or_b32_e32 v28, 0x1700, v0
	v_cmp_gt_u32_e64 s[50:51], s50, v28
	s_and_saveexec_b64 s[52:53], s[50:51]
	s_cbranch_execz .LBB86_48
; %bb.47:
	v_add_co_u32_e32 v2, vcc, 0x2000, v2
	s_nop 1
	v_addc_co_u32_e32 v3, vcc, 0, v3, vcc
	global_load_ushort v1, v[2:3], off offset:3584
.LBB86_48:
	s_or_b64 exec, exec, s[52:53]
	s_waitcnt vmcnt(0)
	ds_write_b16 v14, v4
	ds_write_b16 v14, v5 offset:512
	ds_write_b16 v14, v6 offset:1024
	;; [unrolled: 1-line block ×23, first 2 shown]
	v_mad_u32_u24 v1, v0, 46, v14
	s_waitcnt lgkmcnt(0)
	s_barrier
	ds_read_b128 v[10:13], v1
	ds_read_b128 v[6:9], v1 offset:16
	ds_read_b128 v[2:5], v1 offset:32
	s_waitcnt lgkmcnt(0)
	s_barrier
	v_mul_f16_sdwa v15, v10, v10 dst_sel:DWORD dst_unused:UNUSED_PAD src0_sel:DWORD src1_sel:WORD_1
	v_mul_f16_e32 v15, v15, v11
	v_mul_f16_sdwa v15, v15, v11 dst_sel:DWORD dst_unused:UNUSED_PAD src0_sel:DWORD src1_sel:WORD_1
	v_mul_f16_e32 v15, v15, v12
	;; [unrolled: 2-line block ×11, first 2 shown]
	v_mul_f16_sdwa v16, v15, v5 dst_sel:DWORD dst_unused:UNUSED_PAD src0_sel:DWORD src1_sel:WORD_1
	v_mbcnt_lo_u32_b32 v15, -1, 0
	v_mbcnt_hi_u32_b32 v15, -1, v15
	v_and_b32_e32 v17, 15, v15
	v_mov_b32_dpp v18, v16 row_shr:1 row_mask:0xf bank_mask:0xf
	v_mul_f16_e32 v18, v16, v18
	v_cmp_eq_u32_e32 vcc, 0, v17
	s_nop 1
	v_cndmask_b32_e32 v16, v18, v16, vcc
	v_and_b32_e32 v18, 0xffff, v16
	v_cmp_lt_u32_e32 vcc, 1, v17
	s_nop 0
	v_mov_b32_dpp v18, v18 row_shr:2 row_mask:0xf bank_mask:0xf
	v_mul_f16_e32 v18, v16, v18
	v_cndmask_b32_e32 v16, v16, v18, vcc
	v_and_b32_e32 v18, 0xffff, v16
	v_cmp_lt_u32_e32 vcc, 3, v17
	s_nop 0
	v_mov_b32_dpp v18, v18 row_shr:4 row_mask:0xf bank_mask:0xf
	v_mul_f16_e32 v18, v16, v18
	;; [unrolled: 6-line block ×3, first 2 shown]
	v_cndmask_b32_e32 v16, v16, v18, vcc
	v_and_b32_e32 v17, 0xffff, v16
	v_and_b32_e32 v18, 16, v15
	v_cmp_eq_u32_e32 vcc, 0, v18
	v_mov_b32_dpp v17, v17 row_bcast:15 row_mask:0xf bank_mask:0xf
	v_mul_f16_e32 v17, v16, v17
	v_cndmask_b32_e32 v16, v17, v16, vcc
	v_and_b32_e32 v17, 0xffff, v16
	v_cmp_lt_u32_e32 vcc, 31, v15
	v_or_b32_e32 v18, 63, v0
	v_mov_b32_dpp v17, v17 row_bcast:31 row_mask:0xf bank_mask:0xf
	v_mul_f16_e32 v17, v16, v17
	v_cndmask_b32_e32 v16, v16, v17, vcc
	v_lshrrev_b32_e32 v17, 6, v0
	v_cmp_eq_u32_e32 vcc, v18, v0
	s_and_saveexec_b64 s[52:53], vcc
	s_cbranch_execz .LBB86_50
; %bb.49:
	v_lshlrev_b32_e32 v18, 1, v17
	ds_write_b16 v18, v16
.LBB86_50:
	s_or_b64 exec, exec, s[52:53]
	v_cmp_gt_u32_e32 vcc, 4, v0
	s_waitcnt lgkmcnt(0)
	s_barrier
	s_and_saveexec_b64 s[52:53], vcc
	s_cbranch_execz .LBB86_52
; %bb.51:
	ds_read_u16 v18, v14
	v_and_b32_e32 v19, 3, v15
	v_cmp_eq_u32_e32 vcc, 0, v19
	s_waitcnt lgkmcnt(0)
	v_and_b32_e32 v20, 0xffff, v18
	s_nop 1
	v_mov_b32_dpp v20, v20 row_shr:1 row_mask:0xf bank_mask:0xf
	v_mul_f16_e32 v20, v18, v20
	v_cndmask_b32_e32 v18, v20, v18, vcc
	v_and_b32_e32 v20, 0xffff, v18
	v_cmp_lt_u32_e32 vcc, 1, v19
	s_nop 0
	v_mov_b32_dpp v20, v20 row_shr:2 row_mask:0xf bank_mask:0xf
	v_mul_f16_e32 v20, v18, v20
	v_cndmask_b32_e32 v18, v18, v20, vcc
	ds_write_b16 v14, v18
.LBB86_52:
	s_or_b64 exec, exec, s[52:53]
	v_cmp_lt_u32_e32 vcc, 63, v0
	s_waitcnt lgkmcnt(0)
	s_barrier
	s_waitcnt lgkmcnt(0)
                                        ; implicit-def: $vgpr18
	s_and_saveexec_b64 s[52:53], vcc
	s_cbranch_execz .LBB86_54
; %bb.53:
	v_lshl_add_u32 v17, v17, 1, -2
	ds_read_u16 v18, v17
	s_waitcnt lgkmcnt(0)
	v_mul_f16_e32 v16, v16, v18
.LBB86_54:
	s_or_b64 exec, exec, s[52:53]
	v_add_u32_e32 v17, -1, v15
	v_and_b32_e32 v19, 64, v15
	v_cmp_lt_i32_e32 vcc, v17, v19
	v_and_b32_e32 v16, 0xffff, v16
	s_mov_b32 s33, 0x5040100
	v_cndmask_b32_e32 v17, v17, v15, vcc
	v_lshlrev_b32_e32 v17, 2, v17
	ds_bpermute_b32 v16, v17, v16
	v_cmp_eq_u32_e32 vcc, 0, v15
	s_waitcnt lgkmcnt(0)
	s_barrier
	v_cndmask_b32_e32 v15, v16, v18, vcc
	v_mul_f16_e32 v15, v10, v15
	v_cmp_eq_u32_e32 vcc, 0, v0
	s_load_dwordx2 s[0:1], s[0:1], 0x18
	s_nop 0
	v_cndmask_b32_e32 v15, v15, v10, vcc
	v_mul_f16_sdwa v10, v10, v15 dst_sel:DWORD dst_unused:UNUSED_PAD src0_sel:WORD_1 src1_sel:DWORD
	v_mul_f16_e32 v16, v11, v10
	v_mul_f16_sdwa v11, v11, v16 dst_sel:DWORD dst_unused:UNUSED_PAD src0_sel:WORD_1 src1_sel:DWORD
	v_mul_f16_e32 v17, v12, v11
	;; [unrolled: 2-line block ×11, first 2 shown]
	v_mul_f16_sdwa v30, v5, v29 dst_sel:DWORD dst_unused:UNUSED_PAD src0_sel:WORD_1 src1_sel:DWORD
	v_perm_b32 v2, v10, v15, s33
	v_pack_b32_f16 v3, v16, v11
	v_pack_b32_f16 v4, v17, v12
	;; [unrolled: 1-line block ×3, first 2 shown]
	ds_write_b128 v1, v[2:5]
	v_pack_b32_f16 v2, v19, v6
	v_pack_b32_f16 v3, v20, v7
	;; [unrolled: 1-line block ×4, first 2 shown]
	s_movk_i32 s33, 0xffd2
	ds_write_b128 v1, v[2:5] offset:16
	v_pack_b32_f16 v2, v23, v24
	v_pack_b32_f16 v3, v25, v26
	;; [unrolled: 1-line block ×4, first 2 shown]
	v_mad_i32_i24 v0, v0, s33, v1
	ds_write_b128 v1, v[2:5] offset:32
	s_waitcnt lgkmcnt(0)
	s_barrier
	ds_read_u16 v25, v0 offset:512
	ds_read_u16 v24, v0 offset:1024
	;; [unrolled: 1-line block ×23, first 2 shown]
	v_mov_b32_e32 v15, 0
	v_lshl_add_u64 v[0:1], s[0:1], 0, v[14:15]
	s_and_saveexec_b64 s[0:1], s[40:41]
	s_cbranch_execnz .LBB86_79
; %bb.55:
	s_or_b64 exec, exec, s[0:1]
	s_and_saveexec_b64 s[0:1], s[2:3]
	s_cbranch_execnz .LBB86_80
.LBB86_56:
	s_or_b64 exec, exec, s[0:1]
	s_and_saveexec_b64 s[0:1], s[4:5]
	s_cbranch_execnz .LBB86_81
.LBB86_57:
	s_or_b64 exec, exec, s[0:1]
	s_and_saveexec_b64 s[0:1], s[6:7]
	s_cbranch_execnz .LBB86_82
.LBB86_58:
	s_or_b64 exec, exec, s[0:1]
	s_and_saveexec_b64 s[0:1], s[8:9]
	s_cbranch_execnz .LBB86_83
.LBB86_59:
	s_or_b64 exec, exec, s[0:1]
	s_and_saveexec_b64 s[0:1], s[10:11]
	s_cbranch_execnz .LBB86_84
.LBB86_60:
	s_or_b64 exec, exec, s[0:1]
	s_and_saveexec_b64 s[0:1], s[12:13]
	s_cbranch_execnz .LBB86_85
.LBB86_61:
	s_or_b64 exec, exec, s[0:1]
	s_and_saveexec_b64 s[0:1], s[14:15]
	s_cbranch_execnz .LBB86_86
.LBB86_62:
	s_or_b64 exec, exec, s[0:1]
	s_and_saveexec_b64 s[0:1], s[16:17]
	s_cbranch_execnz .LBB86_87
.LBB86_63:
	s_or_b64 exec, exec, s[0:1]
	s_and_saveexec_b64 s[0:1], s[18:19]
	s_cbranch_execnz .LBB86_88
.LBB86_64:
	s_or_b64 exec, exec, s[0:1]
	s_and_saveexec_b64 s[0:1], s[20:21]
	s_cbranch_execnz .LBB86_89
.LBB86_65:
	s_or_b64 exec, exec, s[0:1]
	s_and_saveexec_b64 s[0:1], s[22:23]
	s_cbranch_execnz .LBB86_90
.LBB86_66:
	s_or_b64 exec, exec, s[0:1]
	s_and_saveexec_b64 s[0:1], s[24:25]
	s_cbranch_execnz .LBB86_91
.LBB86_67:
	s_or_b64 exec, exec, s[0:1]
	s_and_saveexec_b64 s[0:1], s[26:27]
	s_cbranch_execnz .LBB86_92
.LBB86_68:
	s_or_b64 exec, exec, s[0:1]
	s_and_saveexec_b64 s[0:1], s[28:29]
	s_cbranch_execnz .LBB86_93
.LBB86_69:
	s_or_b64 exec, exec, s[0:1]
	s_and_saveexec_b64 s[0:1], s[30:31]
	s_cbranch_execnz .LBB86_94
.LBB86_70:
	s_or_b64 exec, exec, s[0:1]
	s_and_saveexec_b64 s[0:1], s[34:35]
	s_cbranch_execnz .LBB86_95
.LBB86_71:
	s_or_b64 exec, exec, s[0:1]
	s_and_saveexec_b64 s[0:1], s[36:37]
	s_cbranch_execnz .LBB86_96
.LBB86_72:
	s_or_b64 exec, exec, s[0:1]
	s_and_saveexec_b64 s[0:1], s[38:39]
	s_cbranch_execnz .LBB86_97
.LBB86_73:
	s_or_b64 exec, exec, s[0:1]
	s_and_saveexec_b64 s[0:1], s[42:43]
	s_cbranch_execnz .LBB86_98
.LBB86_74:
	s_or_b64 exec, exec, s[0:1]
	s_and_saveexec_b64 s[0:1], s[44:45]
	s_cbranch_execnz .LBB86_99
.LBB86_75:
	s_or_b64 exec, exec, s[0:1]
	s_and_saveexec_b64 s[0:1], s[46:47]
	s_cbranch_execnz .LBB86_100
.LBB86_76:
	s_or_b64 exec, exec, s[0:1]
	s_and_saveexec_b64 s[0:1], s[48:49]
	s_cbranch_execnz .LBB86_101
.LBB86_77:
	s_or_b64 exec, exec, s[0:1]
	s_and_saveexec_b64 s[0:1], s[50:51]
	s_cbranch_execnz .LBB86_102
.LBB86_78:
	s_endpgm
.LBB86_79:
	ds_read_u16 v14, v14
	s_waitcnt lgkmcnt(0)
	global_store_short v[0:1], v14, off
	s_or_b64 exec, exec, s[0:1]
	s_and_saveexec_b64 s[0:1], s[2:3]
	s_cbranch_execz .LBB86_56
.LBB86_80:
	s_waitcnt lgkmcnt(14)
	global_store_short v[0:1], v25, off offset:512
	s_or_b64 exec, exec, s[0:1]
	s_and_saveexec_b64 s[0:1], s[4:5]
	s_cbranch_execz .LBB86_57
.LBB86_81:
	s_waitcnt lgkmcnt(14)
	global_store_short v[0:1], v24, off offset:1024
	s_or_b64 exec, exec, s[0:1]
	s_and_saveexec_b64 s[0:1], s[6:7]
	s_cbranch_execz .LBB86_58
.LBB86_82:
	s_waitcnt lgkmcnt(14)
	global_store_short v[0:1], v23, off offset:1536
	s_or_b64 exec, exec, s[0:1]
	s_and_saveexec_b64 s[0:1], s[8:9]
	s_cbranch_execz .LBB86_59
.LBB86_83:
	s_waitcnt lgkmcnt(1)
	global_store_short v[0:1], v26, off offset:2048
	s_or_b64 exec, exec, s[0:1]
	s_and_saveexec_b64 s[0:1], s[10:11]
	s_cbranch_execz .LBB86_60
.LBB86_84:
	s_waitcnt lgkmcnt(14)
	global_store_short v[0:1], v22, off offset:2560
	s_or_b64 exec, exec, s[0:1]
	s_and_saveexec_b64 s[0:1], s[12:13]
	s_cbranch_execz .LBB86_61
.LBB86_85:
	s_waitcnt lgkmcnt(14)
	global_store_short v[0:1], v21, off offset:3072
	s_or_b64 exec, exec, s[0:1]
	s_and_saveexec_b64 s[0:1], s[14:15]
	s_cbranch_execz .LBB86_62
.LBB86_86:
	s_waitcnt lgkmcnt(14)
	global_store_short v[0:1], v20, off offset:3584
	s_or_b64 exec, exec, s[0:1]
	s_and_saveexec_b64 s[0:1], s[16:17]
	s_cbranch_execz .LBB86_63
.LBB86_87:
	v_add_co_u32_e32 v14, vcc, 0x1000, v0
	s_nop 1
	v_addc_co_u32_e32 v15, vcc, 0, v1, vcc
	s_waitcnt lgkmcnt(14)
	global_store_short v[14:15], v19, off
	s_or_b64 exec, exec, s[0:1]
	s_and_saveexec_b64 s[0:1], s[18:19]
	s_cbranch_execz .LBB86_64
.LBB86_88:
	v_add_co_u32_e32 v14, vcc, 0x1000, v0
	s_nop 1
	v_addc_co_u32_e32 v15, vcc, 0, v1, vcc
	s_waitcnt lgkmcnt(14)
	global_store_short v[14:15], v18, off offset:512
	s_or_b64 exec, exec, s[0:1]
	s_and_saveexec_b64 s[0:1], s[20:21]
	s_cbranch_execz .LBB86_65
.LBB86_89:
	v_add_co_u32_e32 v14, vcc, 0x1000, v0
	s_nop 1
	v_addc_co_u32_e32 v15, vcc, 0, v1, vcc
	s_waitcnt lgkmcnt(14)
	global_store_short v[14:15], v17, off offset:1024
	s_or_b64 exec, exec, s[0:1]
	s_and_saveexec_b64 s[0:1], s[22:23]
	s_cbranch_execz .LBB86_66
.LBB86_90:
	v_add_co_u32_e32 v14, vcc, 0x1000, v0
	s_nop 1
	v_addc_co_u32_e32 v15, vcc, 0, v1, vcc
	s_waitcnt lgkmcnt(10)
	global_store_short v[14:15], v16, off offset:1536
	s_or_b64 exec, exec, s[0:1]
	s_and_saveexec_b64 s[0:1], s[24:25]
	s_cbranch_execz .LBB86_67
.LBB86_91:
	v_add_co_u32_e32 v14, vcc, 0x1000, v0
	s_nop 1
	v_addc_co_u32_e32 v15, vcc, 0, v1, vcc
	s_waitcnt lgkmcnt(13)
	global_store_short v[14:15], v13, off offset:2048
	s_or_b64 exec, exec, s[0:1]
	s_and_saveexec_b64 s[0:1], s[26:27]
	s_cbranch_execz .LBB86_68
.LBB86_92:
	v_add_co_u32_e32 v14, vcc, 0x1000, v0
	s_nop 1
	v_addc_co_u32_e32 v15, vcc, 0, v1, vcc
	s_waitcnt lgkmcnt(9)
	global_store_short v[14:15], v12, off offset:2560
	s_or_b64 exec, exec, s[0:1]
	s_and_saveexec_b64 s[0:1], s[28:29]
	s_cbranch_execz .LBB86_69
.LBB86_93:
	s_waitcnt lgkmcnt(9)
	v_add_co_u32_e32 v12, vcc, 0x1000, v0
	s_nop 1
	v_addc_co_u32_e32 v13, vcc, 0, v1, vcc
	s_waitcnt lgkmcnt(8)
	global_store_short v[12:13], v11, off offset:3072
	s_or_b64 exec, exec, s[0:1]
	s_and_saveexec_b64 s[0:1], s[30:31]
	s_cbranch_execz .LBB86_70
.LBB86_94:
	s_waitcnt lgkmcnt(9)
	v_add_co_u32_e32 v12, vcc, 0x1000, v0
	s_nop 1
	v_addc_co_u32_e32 v13, vcc, 0, v1, vcc
	s_waitcnt lgkmcnt(7)
	global_store_short v[12:13], v10, off offset:3584
	s_or_b64 exec, exec, s[0:1]
	s_and_saveexec_b64 s[0:1], s[34:35]
	s_cbranch_execz .LBB86_71
.LBB86_95:
	s_waitcnt lgkmcnt(7)
	v_add_co_u32_e32 v10, vcc, 0x2000, v0
	s_nop 1
	v_addc_co_u32_e32 v11, vcc, 0, v1, vcc
	global_store_short v[10:11], v9, off
	s_or_b64 exec, exec, s[0:1]
	s_and_saveexec_b64 s[0:1], s[36:37]
	s_cbranch_execz .LBB86_72
.LBB86_96:
	s_waitcnt lgkmcnt(7)
	v_add_co_u32_e32 v10, vcc, 0x2000, v0
	s_nop 1
	v_addc_co_u32_e32 v11, vcc, 0, v1, vcc
	s_waitcnt lgkmcnt(6)
	global_store_short v[10:11], v8, off offset:512
	s_or_b64 exec, exec, s[0:1]
	s_and_saveexec_b64 s[0:1], s[38:39]
	s_cbranch_execz .LBB86_73
.LBB86_97:
	s_waitcnt lgkmcnt(6)
	v_add_co_u32_e32 v8, vcc, 0x2000, v0
	s_nop 1
	v_addc_co_u32_e32 v9, vcc, 0, v1, vcc
	s_waitcnt lgkmcnt(5)
	global_store_short v[8:9], v7, off offset:1024
	s_or_b64 exec, exec, s[0:1]
	s_and_saveexec_b64 s[0:1], s[42:43]
	s_cbranch_execz .LBB86_74
.LBB86_98:
	s_waitcnt lgkmcnt(6)
	v_add_co_u32_e32 v8, vcc, 0x2000, v0
	s_nop 1
	v_addc_co_u32_e32 v9, vcc, 0, v1, vcc
	s_waitcnt lgkmcnt(4)
	global_store_short v[8:9], v6, off offset:1536
	s_or_b64 exec, exec, s[0:1]
	s_and_saveexec_b64 s[0:1], s[44:45]
	s_cbranch_execz .LBB86_75
.LBB86_99:
	s_waitcnt lgkmcnt(4)
	v_add_co_u32_e32 v6, vcc, 0x2000, v0
	s_nop 1
	v_addc_co_u32_e32 v7, vcc, 0, v1, vcc
	global_store_short v[6:7], v5, off offset:2048
	s_or_b64 exec, exec, s[0:1]
	s_and_saveexec_b64 s[0:1], s[46:47]
	s_cbranch_execz .LBB86_76
.LBB86_100:
	s_waitcnt lgkmcnt(4)
	v_add_co_u32_e32 v6, vcc, 0x2000, v0
	s_nop 1
	v_addc_co_u32_e32 v7, vcc, 0, v1, vcc
	s_waitcnt lgkmcnt(3)
	global_store_short v[6:7], v4, off offset:2560
	s_or_b64 exec, exec, s[0:1]
	s_and_saveexec_b64 s[0:1], s[48:49]
	s_cbranch_execz .LBB86_77
.LBB86_101:
	s_waitcnt lgkmcnt(3)
	v_add_co_u32_e32 v4, vcc, 0x2000, v0
	s_nop 1
	v_addc_co_u32_e32 v5, vcc, 0, v1, vcc
	s_waitcnt lgkmcnt(2)
	global_store_short v[4:5], v3, off offset:3072
	s_or_b64 exec, exec, s[0:1]
	s_and_saveexec_b64 s[0:1], s[50:51]
	s_cbranch_execz .LBB86_78
.LBB86_102:
	v_add_co_u32_e32 v0, vcc, 0x2000, v0
	s_nop 1
	v_addc_co_u32_e32 v1, vcc, 0, v1, vcc
	s_waitcnt lgkmcnt(0)
	global_store_short v[0:1], v2, off offset:3584
	s_endpgm
	.section	.rodata,"a",@progbits
	.p2align	6, 0x0
	.amdhsa_kernel _ZN7rocprim17ROCPRIM_304000_NS6detail18single_scan_kernelILb0ENS1_19wrapped_scan_configINS0_14default_configEN3c104HalfEEEPKS6_PS6_St10multipliesIS6_ES6_S6_EEvT1_mT4_T2_T3_
		.amdhsa_group_segment_fixed_size 12288
		.amdhsa_private_segment_fixed_size 0
		.amdhsa_kernarg_size 36
		.amdhsa_user_sgpr_count 2
		.amdhsa_user_sgpr_dispatch_ptr 0
		.amdhsa_user_sgpr_queue_ptr 0
		.amdhsa_user_sgpr_kernarg_segment_ptr 1
		.amdhsa_user_sgpr_dispatch_id 0
		.amdhsa_user_sgpr_kernarg_preload_length 0
		.amdhsa_user_sgpr_kernarg_preload_offset 0
		.amdhsa_user_sgpr_private_segment_size 0
		.amdhsa_uses_dynamic_stack 0
		.amdhsa_enable_private_segment 0
		.amdhsa_system_sgpr_workgroup_id_x 1
		.amdhsa_system_sgpr_workgroup_id_y 0
		.amdhsa_system_sgpr_workgroup_id_z 0
		.amdhsa_system_sgpr_workgroup_info 0
		.amdhsa_system_vgpr_workitem_id 0
		.amdhsa_next_free_vgpr 31
		.amdhsa_next_free_sgpr 54
		.amdhsa_accum_offset 32
		.amdhsa_reserve_vcc 1
		.amdhsa_float_round_mode_32 0
		.amdhsa_float_round_mode_16_64 0
		.amdhsa_float_denorm_mode_32 3
		.amdhsa_float_denorm_mode_16_64 3
		.amdhsa_dx10_clamp 1
		.amdhsa_ieee_mode 1
		.amdhsa_fp16_overflow 0
		.amdhsa_tg_split 0
		.amdhsa_exception_fp_ieee_invalid_op 0
		.amdhsa_exception_fp_denorm_src 0
		.amdhsa_exception_fp_ieee_div_zero 0
		.amdhsa_exception_fp_ieee_overflow 0
		.amdhsa_exception_fp_ieee_underflow 0
		.amdhsa_exception_fp_ieee_inexact 0
		.amdhsa_exception_int_div_zero 0
	.end_amdhsa_kernel
	.section	.text._ZN7rocprim17ROCPRIM_304000_NS6detail18single_scan_kernelILb0ENS1_19wrapped_scan_configINS0_14default_configEN3c104HalfEEEPKS6_PS6_St10multipliesIS6_ES6_S6_EEvT1_mT4_T2_T3_,"axG",@progbits,_ZN7rocprim17ROCPRIM_304000_NS6detail18single_scan_kernelILb0ENS1_19wrapped_scan_configINS0_14default_configEN3c104HalfEEEPKS6_PS6_St10multipliesIS6_ES6_S6_EEvT1_mT4_T2_T3_,comdat
.Lfunc_end86:
	.size	_ZN7rocprim17ROCPRIM_304000_NS6detail18single_scan_kernelILb0ENS1_19wrapped_scan_configINS0_14default_configEN3c104HalfEEEPKS6_PS6_St10multipliesIS6_ES6_S6_EEvT1_mT4_T2_T3_, .Lfunc_end86-_ZN7rocprim17ROCPRIM_304000_NS6detail18single_scan_kernelILb0ENS1_19wrapped_scan_configINS0_14default_configEN3c104HalfEEEPKS6_PS6_St10multipliesIS6_ES6_S6_EEvT1_mT4_T2_T3_
                                        ; -- End function
	.section	.AMDGPU.csdata,"",@progbits
; Kernel info:
; codeLenInByte = 3736
; NumSgprs: 60
; NumVgprs: 31
; NumAgprs: 0
; TotalNumVgprs: 31
; ScratchSize: 0
; MemoryBound: 0
; FloatMode: 240
; IeeeMode: 1
; LDSByteSize: 12288 bytes/workgroup (compile time only)
; SGPRBlocks: 7
; VGPRBlocks: 3
; NumSGPRsForWavesPerEU: 60
; NumVGPRsForWavesPerEU: 31
; AccumOffset: 32
; Occupancy: 5
; WaveLimiterHint : 0
; COMPUTE_PGM_RSRC2:SCRATCH_EN: 0
; COMPUTE_PGM_RSRC2:USER_SGPR: 2
; COMPUTE_PGM_RSRC2:TRAP_HANDLER: 0
; COMPUTE_PGM_RSRC2:TGID_X_EN: 1
; COMPUTE_PGM_RSRC2:TGID_Y_EN: 0
; COMPUTE_PGM_RSRC2:TGID_Z_EN: 0
; COMPUTE_PGM_RSRC2:TIDIG_COMP_CNT: 0
; COMPUTE_PGM_RSRC3_GFX90A:ACCUM_OFFSET: 7
; COMPUTE_PGM_RSRC3_GFX90A:TG_SPLIT: 0
	.section	.text._ZN2at6native32tensor_kernel_scan_innermost_dimIN3c104HalfESt10multipliesIS3_EEEvPT_PKS6_jjjS6_T0_,"axG",@progbits,_ZN2at6native32tensor_kernel_scan_innermost_dimIN3c104HalfESt10multipliesIS3_EEEvPT_PKS6_jjjS6_T0_,comdat
	.protected	_ZN2at6native32tensor_kernel_scan_innermost_dimIN3c104HalfESt10multipliesIS3_EEEvPT_PKS6_jjjS6_T0_ ; -- Begin function _ZN2at6native32tensor_kernel_scan_innermost_dimIN3c104HalfESt10multipliesIS3_EEEvPT_PKS6_jjjS6_T0_
	.globl	_ZN2at6native32tensor_kernel_scan_innermost_dimIN3c104HalfESt10multipliesIS3_EEEvPT_PKS6_jjjS6_T0_
	.p2align	8
	.type	_ZN2at6native32tensor_kernel_scan_innermost_dimIN3c104HalfESt10multipliesIS3_EEEvPT_PKS6_jjjS6_T0_,@function
_ZN2at6native32tensor_kernel_scan_innermost_dimIN3c104HalfESt10multipliesIS3_EEEvPT_PKS6_jjjS6_T0_: ; @_ZN2at6native32tensor_kernel_scan_innermost_dimIN3c104HalfESt10multipliesIS3_EEEvPT_PKS6_jjjS6_T0_
; %bb.0:
	s_load_dwordx8 s[12:19], s[0:1], 0x0
	v_bfe_u32 v2, v0, 10, 10
	s_waitcnt lgkmcnt(0)
	s_lshl_b32 s3, 2, s18
	v_mul_lo_u32 v1, s3, v2
	s_mul_hi_u32 s4, s16, s17
	s_mov_b32 s20, s16
	v_lshl_add_u32 v18, v1, 1, 0
	s_cmp_lg_u32 s4, 0
	s_mov_b64 s[4:5], -1
	s_cbranch_scc1 .LBB87_26
; %bb.1:
	s_load_dword s6, s[0:1], 0x2c
	s_add_u32 s4, s0, 32
	s_addc_u32 s5, s1, 0
	s_waitcnt lgkmcnt(0)
	s_lshr_b32 s6, s6, 16
	s_mul_i32 s21, s2, s6
	s_cmp_ge_u32 s21, s16
	s_cbranch_scc1 .LBB87_25
; %bb.2:
	s_load_dword s27, s[4:5], 0x0
	s_lshl_b32 s26, 1, s18
	s_cmp_lg_u32 s17, 0
	v_and_b32_e32 v1, 0x3ff, v0
	s_cselect_b64 s[4:5], -1, 0
	v_lshl_add_u32 v3, v1, 1, v18
	v_add_u32_e32 v13, -2, v18
	v_cndmask_b32_e64 v4, 0, 1, s[4:5]
	v_lshl_add_u32 v12, s26, 1, v3
	v_cmp_eq_u32_e64 s[8:9], 0, v1
	v_lshl_add_u32 v14, s3, 1, v13
	s_waitcnt lgkmcnt(0)
	s_mul_i32 s27, s27, s6
	s_add_i32 s28, s18, 1
	v_cmp_ne_u32_e64 s[4:5], 1, v4
	v_mov_b32_e32 v5, 0
	s_branch .LBB87_4
.LBB87_3:                               ;   in Loop: Header=BB87_4 Depth=1
	s_add_i32 s21, s21, s27
	s_cmp_ge_u32 s21, s16
	s_cbranch_scc1 .LBB87_25
.LBB87_4:                               ; =>This Loop Header: Depth=1
                                        ;     Child Loop BB87_7 Depth 2
                                        ;       Child Loop BB87_16 Depth 3
	s_and_b64 vcc, exec, s[4:5]
	s_cbranch_vccnz .LBB87_3
; %bb.5:                                ;   in Loop: Header=BB87_4 Depth=1
	v_add_u32_e32 v10, s21, v2
	v_mul_lo_u32 v4, v10, s17
	v_lshlrev_b64 v[8:9], 1, v[4:5]
	v_lshl_add_u64 v[6:7], s[14:15], 0, v[8:9]
	v_lshl_add_u64 v[8:9], s[12:13], 0, v[8:9]
	v_cmp_gt_u32_e32 vcc, s16, v10
	v_cmp_le_u32_e64 s[6:7], s16, v10
	s_mov_b32 s29, 0
	v_mov_b32_e32 v15, s19
	s_branch .LBB87_7
.LBB87_6:                               ;   in Loop: Header=BB87_7 Depth=2
	s_or_b64 exec, exec, s[22:23]
	ds_read_u16 v15, v14
	s_add_i32 s29, s29, s3
	s_cmp_ge_u32 s29, s17
	s_waitcnt lgkmcnt(0)
	s_barrier
	s_cbranch_scc1 .LBB87_3
.LBB87_7:                               ;   Parent Loop BB87_4 Depth=1
                                        ; =>  This Loop Header: Depth=2
                                        ;       Child Loop BB87_16 Depth 3
	v_add_u32_e32 v4, s29, v1
	v_add_u32_e32 v10, s26, v4
	s_and_saveexec_b64 s[22:23], vcc
	s_cbranch_execz .LBB87_14
; %bb.8:                                ;   in Loop: Header=BB87_7 Depth=2
	v_cmp_gt_u32_e64 s[10:11], s17, v4
	v_mov_b32_e32 v11, s19
	s_and_saveexec_b64 s[24:25], s[10:11]
	s_cbranch_execz .LBB87_10
; %bb.9:                                ;   in Loop: Header=BB87_7 Depth=2
	v_lshl_add_u64 v[16:17], v[4:5], 1, v[6:7]
	global_load_ushort v11, v[16:17], off
.LBB87_10:                              ;   in Loop: Header=BB87_7 Depth=2
	s_or_b64 exec, exec, s[24:25]
	s_waitcnt vmcnt(0)
	ds_write_b16 v3, v11
	v_cmp_gt_u32_e64 s[10:11], s17, v10
	v_mov_b32_e32 v11, s19
	s_and_saveexec_b64 s[24:25], s[10:11]
	s_cbranch_execz .LBB87_12
; %bb.11:                               ;   in Loop: Header=BB87_7 Depth=2
	v_mov_b32_e32 v11, v5
	v_lshl_add_u64 v[16:17], v[10:11], 1, v[6:7]
	global_load_ushort v11, v[16:17], off
.LBB87_12:                              ;   in Loop: Header=BB87_7 Depth=2
	s_or_b64 exec, exec, s[24:25]
	s_waitcnt vmcnt(0)
	ds_write_b16 v12, v11
	s_and_b64 exec, exec, s[8:9]
	s_cbranch_execz .LBB87_14
; %bb.13:                               ;   in Loop: Header=BB87_7 Depth=2
	ds_read_u16 v11, v18
	s_waitcnt lgkmcnt(0)
	v_mul_f16_e32 v11, v11, v15
	ds_write_b16 v18, v11
.LBB87_14:                              ;   in Loop: Header=BB87_7 Depth=2
	s_or_b64 exec, exec, s[22:23]
	s_mov_b64 s[22:23], 0
	v_mov_b32_e32 v11, 0
	s_waitcnt lgkmcnt(0)
	s_barrier
	s_branch .LBB87_16
.LBB87_15:                              ;   in Loop: Header=BB87_16 Depth=3
	s_or_b64 exec, exec, s[10:11]
	v_cmp_eq_u32_e64 s[10:11], s28, v11
	s_or_b64 s[22:23], s[10:11], s[22:23]
	s_waitcnt lgkmcnt(0)
	s_barrier
	s_andn2_b64 exec, exec, s[22:23]
	s_cbranch_execz .LBB87_20
.LBB87_16:                              ;   Parent Loop BB87_4 Depth=1
                                        ;     Parent Loop BB87_7 Depth=2
                                        ; =>    This Inner Loop Header: Depth=3
	v_add_u32_e32 v15, 1, v11
	s_and_saveexec_b64 s[10:11], s[6:7]
	s_xor_b64 s[10:11], exec, s[10:11]
; %bb.17:                               ;   in Loop: Header=BB87_16 Depth=3
	v_add_u32_e32 v11, 1, v11
                                        ; implicit-def: $vgpr15
; %bb.18:                               ;   in Loop: Header=BB87_16 Depth=3
	s_andn2_saveexec_b64 s[10:11], s[10:11]
	s_cbranch_execz .LBB87_15
; %bb.19:                               ;   in Loop: Header=BB87_16 Depth=3
	v_lshlrev_b32_e64 v16, v11, 1
	v_lshrrev_b32_e32 v17, v11, v1
	v_bfm_b32 v11, v11, 0
	v_lshl_or_b32 v16, v17, v15, v16
	v_and_b32_e32 v11, v11, v1
	v_lshlrev_b32_e32 v16, 1, v16
	v_lshlrev_b32_e32 v11, 1, v11
	v_add3_u32 v11, v18, v16, v11
	v_add_u32_e32 v16, v13, v16
	ds_read_u16 v17, v11
	ds_read_u16 v16, v16
	s_waitcnt lgkmcnt(0)
	v_mul_f16_e32 v16, v17, v16
	ds_write_b16 v11, v16
	v_mov_b32_e32 v11, v15
	s_branch .LBB87_15
.LBB87_20:                              ;   in Loop: Header=BB87_7 Depth=2
	s_or_b64 exec, exec, s[22:23]
	s_and_saveexec_b64 s[22:23], vcc
	s_cbranch_execz .LBB87_6
; %bb.21:                               ;   in Loop: Header=BB87_7 Depth=2
	v_cmp_gt_u32_e64 s[10:11], s17, v4
	s_and_saveexec_b64 s[24:25], s[10:11]
	s_cbranch_execz .LBB87_23
; %bb.22:                               ;   in Loop: Header=BB87_7 Depth=2
	ds_read_u16 v11, v3
	v_lshl_add_u64 v[16:17], v[4:5], 1, v[8:9]
	s_waitcnt lgkmcnt(0)
	global_store_short v[16:17], v11, off
.LBB87_23:                              ;   in Loop: Header=BB87_7 Depth=2
	s_or_b64 exec, exec, s[24:25]
	v_cmp_gt_u32_e64 s[10:11], s17, v10
	s_and_b64 exec, exec, s[10:11]
	s_cbranch_execz .LBB87_6
; %bb.24:                               ;   in Loop: Header=BB87_7 Depth=2
	ds_read_u16 v4, v12
	v_mov_b32_e32 v11, v5
	v_lshl_add_u64 v[10:11], v[10:11], 1, v[8:9]
	s_waitcnt lgkmcnt(0)
	global_store_short v[10:11], v4, off
	s_branch .LBB87_6
.LBB87_25:
	s_mov_b64 s[4:5], 0
.LBB87_26:
	s_andn2_b64 vcc, exec, s[4:5]
	s_cbranch_vccnz .LBB87_53
; %bb.27:
	s_load_dword s3, s[0:1], 0x2c
	s_add_u32 s4, s0, 32
	s_mov_b32 s21, 0
	s_addc_u32 s5, s1, 0
	v_mov_b64_e32 v[4:5], s[20:21]
	s_waitcnt lgkmcnt(0)
	s_lshr_b32 s0, s3, 16
	s_mul_hi_u32 s9, s0, s2
	s_mul_i32 s8, s0, s2
	v_cmp_ge_u64_e32 vcc, s[8:9], v[4:5]
	s_cbranch_vccnz .LBB87_53
; %bb.28:
	s_lshl_b32 s10, 1, s18
	s_load_dword s4, s[4:5], 0x0
	s_and_b32 s6, 0xffff, s0
	s_ashr_i32 s11, s10, 31
	s_cmp_lg_u32 s17, 0
	s_mov_b32 s22, s17
	v_and_b32_e32 v0, 0x3ff, v0
	s_cselect_b64 s[2:3], -1, 0
	s_lshl_b64 s[16:17], s[10:11], 1
	v_mov_b32_e32 v3, 0
	v_lshl_add_u32 v19, v0, 1, v18
	s_lshl_b32 s5, s16, 1
	v_cndmask_b32_e64 v4, 0, 1, s[2:3]
	s_mov_b32 s23, s21
	v_mov_b32_e32 v1, v3
	v_lshl_add_u32 v20, s10, 1, v19
	v_cmp_eq_u32_e64 s[0:1], 0, v0
	v_add3_u32 v21, v18, s5, -2
	s_waitcnt lgkmcnt(0)
	s_mul_i32 s33, s4, s6
	s_add_i32 s18, s18, 1
	v_cmp_ne_u32_e64 s[2:3], 1, v4
	v_mov_b64_e32 v[4:5], s[20:21]
	s_branch .LBB87_30
.LBB87_29:                              ;   in Loop: Header=BB87_30 Depth=1
	s_add_u32 s8, s8, s33
	s_addc_u32 s9, s9, 0
	v_cmp_ge_u64_e32 vcc, s[8:9], v[4:5]
	s_cbranch_vccnz .LBB87_53
.LBB87_30:                              ; =>This Loop Header: Depth=1
                                        ;     Child Loop BB87_33 Depth 2
                                        ;       Child Loop BB87_43 Depth 3
	s_and_b64 vcc, exec, s[2:3]
	s_cbranch_vccnz .LBB87_29
; %bb.31:                               ;   in Loop: Header=BB87_30 Depth=1
	v_lshl_add_u64 v[10:11], s[8:9], 0, v[2:3]
	v_mad_u64_u32 v[6:7], s[4:5], v10, s22, 0
	v_mov_b32_e32 v8, v7
	v_mad_u64_u32 v[8:9], s[4:5], v11, s22, v[8:9]
	v_mov_b32_e32 v7, v8
	v_lshlrev_b64 v[8:9], 1, v[6:7]
	v_lshl_add_u64 v[6:7], s[14:15], 0, v[8:9]
	v_lshl_add_u64 v[8:9], s[12:13], 0, v[8:9]
	v_cmp_gt_u64_e64 s[4:5], s[20:21], v[10:11]
	v_cmp_le_u64_e64 s[6:7], s[20:21], v[10:11]
	s_mov_b64 s[24:25], 0
	v_mov_b32_e32 v14, s19
	s_branch .LBB87_33
.LBB87_32:                              ;   in Loop: Header=BB87_33 Depth=2
	s_or_b64 exec, exec, s[26:27]
	ds_read_u16 v14, v21
	s_add_u32 s24, s24, s16
	s_addc_u32 s25, s25, s17
	v_mov_b64_e32 v[10:11], s[22:23]
	v_cmp_ge_u64_e32 vcc, s[24:25], v[10:11]
	s_waitcnt lgkmcnt(0)
	s_barrier
	s_cbranch_vccnz .LBB87_29
.LBB87_33:                              ;   Parent Loop BB87_30 Depth=1
                                        ; =>  This Loop Header: Depth=2
                                        ;       Child Loop BB87_43 Depth 3
	v_lshl_add_u64 v[12:13], s[24:25], 0, v[0:1]
	v_lshl_add_u64 v[10:11], v[12:13], 0, s[10:11]
	s_and_saveexec_b64 s[26:27], s[4:5]
	s_cbranch_execz .LBB87_40
; %bb.34:                               ;   in Loop: Header=BB87_33 Depth=2
	v_cmp_gt_u64_e32 vcc, s[22:23], v[12:13]
	v_mov_b32_e32 v15, s19
	s_and_saveexec_b64 s[28:29], vcc
	s_cbranch_execz .LBB87_36
; %bb.35:                               ;   in Loop: Header=BB87_33 Depth=2
	v_lshl_add_u64 v[16:17], v[12:13], 1, v[6:7]
	global_load_ushort v15, v[16:17], off
.LBB87_36:                              ;   in Loop: Header=BB87_33 Depth=2
	s_or_b64 exec, exec, s[28:29]
	s_waitcnt vmcnt(0)
	ds_write_b16 v19, v15
	v_cmp_gt_u64_e32 vcc, s[22:23], v[10:11]
	v_mov_b32_e32 v15, s19
	s_and_saveexec_b64 s[28:29], vcc
	s_cbranch_execz .LBB87_38
; %bb.37:                               ;   in Loop: Header=BB87_33 Depth=2
	v_lshl_add_u64 v[16:17], v[10:11], 1, v[6:7]
	global_load_ushort v15, v[16:17], off
.LBB87_38:                              ;   in Loop: Header=BB87_33 Depth=2
	s_or_b64 exec, exec, s[28:29]
	s_waitcnt vmcnt(0)
	ds_write_b16 v20, v15
	s_and_b64 exec, exec, s[0:1]
	s_cbranch_execz .LBB87_40
; %bb.39:                               ;   in Loop: Header=BB87_33 Depth=2
	ds_read_u16 v15, v18
	s_waitcnt lgkmcnt(0)
	v_mul_f16_e32 v14, v15, v14
	ds_write_b16 v18, v14
.LBB87_40:                              ;   in Loop: Header=BB87_33 Depth=2
	s_or_b64 exec, exec, s[26:27]
	s_mov_b64 s[26:27], 0
	v_mov_b32_e32 v23, 0
	s_waitcnt lgkmcnt(0)
	s_barrier
	s_branch .LBB87_43
.LBB87_41:                              ;   in Loop: Header=BB87_43 Depth=3
	s_or_b64 exec, exec, s[30:31]
	v_lshrrev_b32_e32 v15, v23, v0
	v_lshl_or_b32 v14, v15, v22, v14
	v_lshl_add_u32 v14, v14, 1, v18
	v_lshl_add_u32 v15, v16, 1, v14
	v_add_u32_e32 v14, -2, v14
	ds_read_u16 v16, v15
	ds_read_u16 v14, v14
	s_waitcnt lgkmcnt(0)
	v_mul_f16_e32 v14, v16, v14
	ds_write_b16 v15, v14
.LBB87_42:                              ;   in Loop: Header=BB87_43 Depth=3
	s_or_b64 exec, exec, s[28:29]
	v_cmp_eq_u32_e32 vcc, s18, v22
	s_or_b64 s[26:27], vcc, s[26:27]
	v_mov_b32_e32 v23, v22
	s_waitcnt lgkmcnt(0)
	s_barrier
	s_andn2_b64 exec, exec, s[26:27]
	s_cbranch_execz .LBB87_48
.LBB87_43:                              ;   Parent Loop BB87_30 Depth=1
                                        ;     Parent Loop BB87_33 Depth=2
                                        ; =>    This Inner Loop Header: Depth=3
	v_add_u32_e32 v22, 1, v23
	s_and_saveexec_b64 s[28:29], s[6:7]
	s_xor_b64 s[28:29], exec, s[28:29]
; %bb.44:                               ;   in Loop: Header=BB87_43 Depth=3
	v_add_u32_e32 v22, 1, v23
                                        ; implicit-def: $vgpr23
; %bb.45:                               ;   in Loop: Header=BB87_43 Depth=3
	s_andn2_saveexec_b64 s[28:29], s[28:29]
	s_cbranch_execz .LBB87_42
; %bb.46:                               ;   in Loop: Header=BB87_43 Depth=3
	v_lshlrev_b32_e64 v14, v23, 1
	v_ashrrev_i32_e32 v15, 31, v14
	v_cmp_ge_u64_e32 vcc, v[0:1], v[14:15]
	v_mov_b64_e32 v[16:17], v[0:1]
	s_and_saveexec_b64 s[30:31], vcc
	s_cbranch_execz .LBB87_41
; %bb.47:                               ;   in Loop: Header=BB87_43 Depth=3
	v_cvt_f32_u32_e32 v15, v14
	v_sub_u32_e32 v16, 0, v14
	v_rcp_iflag_f32_e32 v15, v15
	s_nop 0
	v_mul_f32_e32 v15, 0x4f7ffffe, v15
	v_cvt_u32_f32_e32 v15, v15
	v_mul_lo_u32 v16, v16, v15
	v_mul_hi_u32 v16, v15, v16
	v_add_u32_e32 v15, v15, v16
	v_mul_hi_u32 v15, v0, v15
	v_mul_lo_u32 v15, v15, v14
	v_sub_u32_e32 v15, v0, v15
	v_sub_u32_e32 v16, v15, v14
	v_cmp_ge_u32_e32 vcc, v15, v14
	s_nop 1
	v_cndmask_b32_e32 v15, v15, v16, vcc
	v_sub_u32_e32 v16, v15, v14
	v_cmp_ge_u32_e32 vcc, v15, v14
	s_nop 1
	v_cndmask_b32_e32 v16, v15, v16, vcc
	s_branch .LBB87_41
.LBB87_48:                              ;   in Loop: Header=BB87_33 Depth=2
	s_or_b64 exec, exec, s[26:27]
	s_and_saveexec_b64 s[26:27], s[4:5]
	s_cbranch_execz .LBB87_32
; %bb.49:                               ;   in Loop: Header=BB87_33 Depth=2
	v_cmp_gt_u64_e32 vcc, s[22:23], v[12:13]
	s_and_saveexec_b64 s[28:29], vcc
	s_cbranch_execz .LBB87_51
; %bb.50:                               ;   in Loop: Header=BB87_33 Depth=2
	ds_read_u16 v14, v19
	v_lshl_add_u64 v[12:13], v[12:13], 1, v[8:9]
	s_waitcnt lgkmcnt(0)
	global_store_short v[12:13], v14, off
.LBB87_51:                              ;   in Loop: Header=BB87_33 Depth=2
	s_or_b64 exec, exec, s[28:29]
	v_cmp_gt_u64_e32 vcc, s[22:23], v[10:11]
	s_and_b64 exec, exec, vcc
	s_cbranch_execz .LBB87_32
; %bb.52:                               ;   in Loop: Header=BB87_33 Depth=2
	ds_read_u16 v12, v20
	v_lshl_add_u64 v[10:11], v[10:11], 1, v[8:9]
	s_waitcnt lgkmcnt(0)
	global_store_short v[10:11], v12, off
	s_branch .LBB87_32
.LBB87_53:
	s_endpgm
	.section	.rodata,"a",@progbits
	.p2align	6, 0x0
	.amdhsa_kernel _ZN2at6native32tensor_kernel_scan_innermost_dimIN3c104HalfESt10multipliesIS3_EEEvPT_PKS6_jjjS6_T0_
		.amdhsa_group_segment_fixed_size 0
		.amdhsa_private_segment_fixed_size 0
		.amdhsa_kernarg_size 288
		.amdhsa_user_sgpr_count 2
		.amdhsa_user_sgpr_dispatch_ptr 0
		.amdhsa_user_sgpr_queue_ptr 0
		.amdhsa_user_sgpr_kernarg_segment_ptr 1
		.amdhsa_user_sgpr_dispatch_id 0
		.amdhsa_user_sgpr_kernarg_preload_length 0
		.amdhsa_user_sgpr_kernarg_preload_offset 0
		.amdhsa_user_sgpr_private_segment_size 0
		.amdhsa_uses_dynamic_stack 0
		.amdhsa_enable_private_segment 0
		.amdhsa_system_sgpr_workgroup_id_x 1
		.amdhsa_system_sgpr_workgroup_id_y 0
		.amdhsa_system_sgpr_workgroup_id_z 0
		.amdhsa_system_sgpr_workgroup_info 0
		.amdhsa_system_vgpr_workitem_id 1
		.amdhsa_next_free_vgpr 24
		.amdhsa_next_free_sgpr 34
		.amdhsa_accum_offset 24
		.amdhsa_reserve_vcc 1
		.amdhsa_float_round_mode_32 0
		.amdhsa_float_round_mode_16_64 0
		.amdhsa_float_denorm_mode_32 3
		.amdhsa_float_denorm_mode_16_64 3
		.amdhsa_dx10_clamp 1
		.amdhsa_ieee_mode 1
		.amdhsa_fp16_overflow 0
		.amdhsa_tg_split 0
		.amdhsa_exception_fp_ieee_invalid_op 0
		.amdhsa_exception_fp_denorm_src 0
		.amdhsa_exception_fp_ieee_div_zero 0
		.amdhsa_exception_fp_ieee_overflow 0
		.amdhsa_exception_fp_ieee_underflow 0
		.amdhsa_exception_fp_ieee_inexact 0
		.amdhsa_exception_int_div_zero 0
	.end_amdhsa_kernel
	.section	.text._ZN2at6native32tensor_kernel_scan_innermost_dimIN3c104HalfESt10multipliesIS3_EEEvPT_PKS6_jjjS6_T0_,"axG",@progbits,_ZN2at6native32tensor_kernel_scan_innermost_dimIN3c104HalfESt10multipliesIS3_EEEvPT_PKS6_jjjS6_T0_,comdat
.Lfunc_end87:
	.size	_ZN2at6native32tensor_kernel_scan_innermost_dimIN3c104HalfESt10multipliesIS3_EEEvPT_PKS6_jjjS6_T0_, .Lfunc_end87-_ZN2at6native32tensor_kernel_scan_innermost_dimIN3c104HalfESt10multipliesIS3_EEEvPT_PKS6_jjjS6_T0_
                                        ; -- End function
	.section	.AMDGPU.csdata,"",@progbits
; Kernel info:
; codeLenInByte = 1624
; NumSgprs: 40
; NumVgprs: 24
; NumAgprs: 0
; TotalNumVgprs: 24
; ScratchSize: 0
; MemoryBound: 0
; FloatMode: 240
; IeeeMode: 1
; LDSByteSize: 0 bytes/workgroup (compile time only)
; SGPRBlocks: 4
; VGPRBlocks: 2
; NumSGPRsForWavesPerEU: 40
; NumVGPRsForWavesPerEU: 24
; AccumOffset: 24
; Occupancy: 8
; WaveLimiterHint : 0
; COMPUTE_PGM_RSRC2:SCRATCH_EN: 0
; COMPUTE_PGM_RSRC2:USER_SGPR: 2
; COMPUTE_PGM_RSRC2:TRAP_HANDLER: 0
; COMPUTE_PGM_RSRC2:TGID_X_EN: 1
; COMPUTE_PGM_RSRC2:TGID_Y_EN: 0
; COMPUTE_PGM_RSRC2:TGID_Z_EN: 0
; COMPUTE_PGM_RSRC2:TIDIG_COMP_CNT: 1
; COMPUTE_PGM_RSRC3_GFX90A:ACCUM_OFFSET: 5
; COMPUTE_PGM_RSRC3_GFX90A:TG_SPLIT: 0
	.section	.text._ZN2at6native28tensor_kernel_scan_outer_dimIN3c104HalfEjSt10multipliesIS3_EEEvPT_PKS6_jjjS6_T1_,"axG",@progbits,_ZN2at6native28tensor_kernel_scan_outer_dimIN3c104HalfEjSt10multipliesIS3_EEEvPT_PKS6_jjjS6_T1_,comdat
	.protected	_ZN2at6native28tensor_kernel_scan_outer_dimIN3c104HalfEjSt10multipliesIS3_EEEvPT_PKS6_jjjS6_T1_ ; -- Begin function _ZN2at6native28tensor_kernel_scan_outer_dimIN3c104HalfEjSt10multipliesIS3_EEEvPT_PKS6_jjjS6_T1_
	.globl	_ZN2at6native28tensor_kernel_scan_outer_dimIN3c104HalfEjSt10multipliesIS3_EEEvPT_PKS6_jjjS6_T1_
	.p2align	8
	.type	_ZN2at6native28tensor_kernel_scan_outer_dimIN3c104HalfEjSt10multipliesIS3_EEEvPT_PKS6_jjjS6_T1_,@function
_ZN2at6native28tensor_kernel_scan_outer_dimIN3c104HalfEjSt10multipliesIS3_EEEvPT_PKS6_jjjS6_T1_: ; @_ZN2at6native28tensor_kernel_scan_outer_dimIN3c104HalfEjSt10multipliesIS3_EEEvPT_PKS6_jjjS6_T1_
; %bb.0:
	s_load_dwordx4 s[8:11], s[0:1], 0x10
	s_waitcnt lgkmcnt(0)
	s_cmp_ge_u32 s2, s8
	s_cbranch_scc1 .LBB88_9
; %bb.1:
	s_load_dword s4, s[0:1], 0x2c
	s_load_dwordx4 s[12:15], s[0:1], 0x0
	s_load_dword s26, s[0:1], 0x20
	s_add_u32 s6, s0, 32
	s_addc_u32 s7, s1, 0
	s_waitcnt lgkmcnt(0)
	s_and_b32 s27, s4, 0xffff
	s_mul_i32 s3, s3, s27
	s_cmp_lg_u32 s10, 0
	v_add_u32_e32 v4, s3, v0
	s_mul_i32 s3, s2, s10
	s_cselect_b64 s[4:5], -1, 0
	s_mov_b32 s17, 0
	s_mov_b32 s16, s9
	s_mul_i32 s20, s3, s9
	s_mul_i32 s3, s26, s10
	v_cndmask_b32_e64 v0, 0, 1, s[4:5]
	v_cmp_gt_u32_e64 s[0:1], s9, v4
	s_mul_i32 s3, s3, s9
	s_lshl_b64 s[18:19], s[16:17], 1
	v_cmp_ne_u32_e64 s[4:5], 1, v0
	v_mov_b32_e32 v1, 0
	s_mov_b32 s16, s20
	s_branch .LBB88_3
.LBB88_2:                               ;   in Loop: Header=BB88_3 Depth=1
	s_or_b64 exec, exec, s[20:21]
	s_add_i32 s2, s26, s2
	s_add_i32 s16, s16, s3
	s_cmp_ge_u32 s2, s8
	s_cbranch_scc1 .LBB88_9
.LBB88_3:                               ; =>This Loop Header: Depth=1
                                        ;     Child Loop BB88_6 Depth 2
                                        ;       Child Loop BB88_8 Depth 3
	s_and_saveexec_b64 s[20:21], s[0:1]
	s_cbranch_execz .LBB88_2
; %bb.4:                                ;   in Loop: Header=BB88_3 Depth=1
	s_load_dword s28, s[6:7], 0x4
	s_lshl_b64 s[22:23], s[16:17], 1
	s_mov_b64 s[24:25], 0
	v_mov_b32_e32 v0, v4
	s_waitcnt lgkmcnt(0)
	s_mul_i32 s28, s28, s27
	s_branch .LBB88_6
.LBB88_5:                               ;   in Loop: Header=BB88_6 Depth=2
	v_add_u32_e32 v0, s28, v0
	v_cmp_le_u32_e32 vcc, s9, v0
	s_or_b64 s[24:25], vcc, s[24:25]
	s_andn2_b64 exec, exec, s[24:25]
	s_cbranch_execz .LBB88_2
.LBB88_6:                               ;   Parent Loop BB88_3 Depth=1
                                        ; =>  This Loop Header: Depth=2
                                        ;       Child Loop BB88_8 Depth 3
	s_and_b64 vcc, exec, s[4:5]
	s_cbranch_vccnz .LBB88_5
; %bb.7:                                ;   in Loop: Header=BB88_6 Depth=2
	v_lshl_add_u64 v[2:3], v[0:1], 1, s[22:23]
	v_mov_b32_e32 v5, s11
	s_mov_b32 s29, s10
.LBB88_8:                               ;   Parent Loop BB88_3 Depth=1
                                        ;     Parent Loop BB88_6 Depth=2
                                        ; =>    This Inner Loop Header: Depth=3
	v_lshl_add_u64 v[6:7], s[14:15], 0, v[2:3]
	global_load_ushort v8, v[6:7], off
	s_add_i32 s29, s29, -1
	v_lshl_add_u64 v[6:7], s[12:13], 0, v[2:3]
	v_lshl_add_u64 v[2:3], v[2:3], 0, s[18:19]
	s_cmp_eq_u32 s29, 0
	s_waitcnt vmcnt(0)
	v_mul_f16_e32 v5, v8, v5
	global_store_short v[6:7], v5, off
	s_cbranch_scc0 .LBB88_8
	s_branch .LBB88_5
.LBB88_9:
	s_endpgm
	.section	.rodata,"a",@progbits
	.p2align	6, 0x0
	.amdhsa_kernel _ZN2at6native28tensor_kernel_scan_outer_dimIN3c104HalfEjSt10multipliesIS3_EEEvPT_PKS6_jjjS6_T1_
		.amdhsa_group_segment_fixed_size 0
		.amdhsa_private_segment_fixed_size 0
		.amdhsa_kernarg_size 288
		.amdhsa_user_sgpr_count 2
		.amdhsa_user_sgpr_dispatch_ptr 0
		.amdhsa_user_sgpr_queue_ptr 0
		.amdhsa_user_sgpr_kernarg_segment_ptr 1
		.amdhsa_user_sgpr_dispatch_id 0
		.amdhsa_user_sgpr_kernarg_preload_length 0
		.amdhsa_user_sgpr_kernarg_preload_offset 0
		.amdhsa_user_sgpr_private_segment_size 0
		.amdhsa_uses_dynamic_stack 0
		.amdhsa_enable_private_segment 0
		.amdhsa_system_sgpr_workgroup_id_x 1
		.amdhsa_system_sgpr_workgroup_id_y 1
		.amdhsa_system_sgpr_workgroup_id_z 0
		.amdhsa_system_sgpr_workgroup_info 0
		.amdhsa_system_vgpr_workitem_id 0
		.amdhsa_next_free_vgpr 9
		.amdhsa_next_free_sgpr 30
		.amdhsa_accum_offset 12
		.amdhsa_reserve_vcc 1
		.amdhsa_float_round_mode_32 0
		.amdhsa_float_round_mode_16_64 0
		.amdhsa_float_denorm_mode_32 3
		.amdhsa_float_denorm_mode_16_64 3
		.amdhsa_dx10_clamp 1
		.amdhsa_ieee_mode 1
		.amdhsa_fp16_overflow 0
		.amdhsa_tg_split 0
		.amdhsa_exception_fp_ieee_invalid_op 0
		.amdhsa_exception_fp_denorm_src 0
		.amdhsa_exception_fp_ieee_div_zero 0
		.amdhsa_exception_fp_ieee_overflow 0
		.amdhsa_exception_fp_ieee_underflow 0
		.amdhsa_exception_fp_ieee_inexact 0
		.amdhsa_exception_int_div_zero 0
	.end_amdhsa_kernel
	.section	.text._ZN2at6native28tensor_kernel_scan_outer_dimIN3c104HalfEjSt10multipliesIS3_EEEvPT_PKS6_jjjS6_T1_,"axG",@progbits,_ZN2at6native28tensor_kernel_scan_outer_dimIN3c104HalfEjSt10multipliesIS3_EEEvPT_PKS6_jjjS6_T1_,comdat
.Lfunc_end88:
	.size	_ZN2at6native28tensor_kernel_scan_outer_dimIN3c104HalfEjSt10multipliesIS3_EEEvPT_PKS6_jjjS6_T1_, .Lfunc_end88-_ZN2at6native28tensor_kernel_scan_outer_dimIN3c104HalfEjSt10multipliesIS3_EEEvPT_PKS6_jjjS6_T1_
                                        ; -- End function
	.section	.AMDGPU.csdata,"",@progbits
; Kernel info:
; codeLenInByte = 316
; NumSgprs: 36
; NumVgprs: 9
; NumAgprs: 0
; TotalNumVgprs: 9
; ScratchSize: 0
; MemoryBound: 0
; FloatMode: 240
; IeeeMode: 1
; LDSByteSize: 0 bytes/workgroup (compile time only)
; SGPRBlocks: 4
; VGPRBlocks: 1
; NumSGPRsForWavesPerEU: 36
; NumVGPRsForWavesPerEU: 9
; AccumOffset: 12
; Occupancy: 8
; WaveLimiterHint : 0
; COMPUTE_PGM_RSRC2:SCRATCH_EN: 0
; COMPUTE_PGM_RSRC2:USER_SGPR: 2
; COMPUTE_PGM_RSRC2:TRAP_HANDLER: 0
; COMPUTE_PGM_RSRC2:TGID_X_EN: 1
; COMPUTE_PGM_RSRC2:TGID_Y_EN: 1
; COMPUTE_PGM_RSRC2:TGID_Z_EN: 0
; COMPUTE_PGM_RSRC2:TIDIG_COMP_CNT: 0
; COMPUTE_PGM_RSRC3_GFX90A:ACCUM_OFFSET: 2
; COMPUTE_PGM_RSRC3_GFX90A:TG_SPLIT: 0
	.section	.text._ZN2at6native28tensor_kernel_scan_outer_dimIN3c104HalfEmSt10multipliesIS3_EEEvPT_PKS6_jjjS6_T1_,"axG",@progbits,_ZN2at6native28tensor_kernel_scan_outer_dimIN3c104HalfEmSt10multipliesIS3_EEEvPT_PKS6_jjjS6_T1_,comdat
	.protected	_ZN2at6native28tensor_kernel_scan_outer_dimIN3c104HalfEmSt10multipliesIS3_EEEvPT_PKS6_jjjS6_T1_ ; -- Begin function _ZN2at6native28tensor_kernel_scan_outer_dimIN3c104HalfEmSt10multipliesIS3_EEEvPT_PKS6_jjjS6_T1_
	.globl	_ZN2at6native28tensor_kernel_scan_outer_dimIN3c104HalfEmSt10multipliesIS3_EEEvPT_PKS6_jjjS6_T1_
	.p2align	8
	.type	_ZN2at6native28tensor_kernel_scan_outer_dimIN3c104HalfEmSt10multipliesIS3_EEEvPT_PKS6_jjjS6_T1_,@function
_ZN2at6native28tensor_kernel_scan_outer_dimIN3c104HalfEmSt10multipliesIS3_EEEvPT_PKS6_jjjS6_T1_: ; @_ZN2at6native28tensor_kernel_scan_outer_dimIN3c104HalfEmSt10multipliesIS3_EEEvPT_PKS6_jjjS6_T1_
; %bb.0:
	s_load_dwordx4 s[8:11], s[0:1], 0x10
	s_waitcnt lgkmcnt(0)
	s_cmp_ge_u32 s2, s8
	s_cbranch_scc1 .LBB89_9
; %bb.1:
	s_load_dword s4, s[0:1], 0x2c
	s_load_dwordx4 s[12:15], s[0:1], 0x0
	s_load_dword s26, s[0:1], 0x20
	s_add_u32 s6, s0, 32
	s_addc_u32 s7, s1, 0
	s_waitcnt lgkmcnt(0)
	s_and_b32 s27, s4, 0xffff
	s_cmp_lg_u32 s10, 0
	s_mul_i32 s3, s3, s27
	s_cselect_b64 s[20:21], -1, 0
	v_add_u32_e32 v4, s3, v0
	s_mov_b32 s5, 0
	s_mov_b32 s4, s9
	s_mul_hi_u32 s17, s10, s9
	s_mul_i32 s16, s10, s9
	v_cndmask_b32_e64 v0, 0, 1, s[20:21]
	v_cmp_gt_u32_e64 s[0:1], s9, v4
	s_lshl_b64 s[16:17], s[16:17], 1
	s_lshl_b64 s[18:19], s[4:5], 1
	v_cmp_ne_u32_e64 s[4:5], 1, v0
	v_mov_b32_e32 v1, 0
	s_branch .LBB89_3
.LBB89_2:                               ;   in Loop: Header=BB89_3 Depth=1
	s_or_b64 exec, exec, s[20:21]
	s_add_i32 s2, s2, s26
	s_cmp_ge_u32 s2, s8
	s_cbranch_scc1 .LBB89_9
.LBB89_3:                               ; =>This Loop Header: Depth=1
                                        ;     Child Loop BB89_6 Depth 2
                                        ;       Child Loop BB89_8 Depth 3
	s_and_saveexec_b64 s[20:21], s[0:1]
	s_cbranch_execz .LBB89_2
; %bb.4:                                ;   in Loop: Header=BB89_3 Depth=1
	s_load_dword s3, s[6:7], 0x4
	s_mul_i32 s23, s17, s2
	s_mul_hi_u32 s24, s16, s2
	s_mul_i32 s22, s16, s2
	s_add_i32 s23, s24, s23
	s_waitcnt lgkmcnt(0)
	s_mul_i32 s3, s3, s27
	s_mov_b64 s[24:25], 0
	v_mov_b32_e32 v0, v4
	s_branch .LBB89_6
.LBB89_5:                               ;   in Loop: Header=BB89_6 Depth=2
	v_add_u32_e32 v0, s3, v0
	v_cmp_le_u32_e32 vcc, s9, v0
	s_or_b64 s[24:25], vcc, s[24:25]
	s_andn2_b64 exec, exec, s[24:25]
	s_cbranch_execz .LBB89_2
.LBB89_6:                               ;   Parent Loop BB89_3 Depth=1
                                        ; =>  This Loop Header: Depth=2
                                        ;       Child Loop BB89_8 Depth 3
	s_and_b64 vcc, exec, s[4:5]
	s_cbranch_vccnz .LBB89_5
; %bb.7:                                ;   in Loop: Header=BB89_6 Depth=2
	v_lshl_add_u64 v[2:3], v[0:1], 1, s[22:23]
	v_mov_b32_e32 v5, s11
	s_mov_b32 s28, s10
.LBB89_8:                               ;   Parent Loop BB89_3 Depth=1
                                        ;     Parent Loop BB89_6 Depth=2
                                        ; =>    This Inner Loop Header: Depth=3
	v_lshl_add_u64 v[6:7], s[14:15], 0, v[2:3]
	global_load_ushort v8, v[6:7], off
	s_add_i32 s28, s28, -1
	v_lshl_add_u64 v[6:7], s[12:13], 0, v[2:3]
	v_lshl_add_u64 v[2:3], v[2:3], 0, s[18:19]
	s_cmp_eq_u32 s28, 0
	s_waitcnt vmcnt(0)
	v_mul_f16_e32 v5, v8, v5
	global_store_short v[6:7], v5, off
	s_cbranch_scc0 .LBB89_8
	s_branch .LBB89_5
.LBB89_9:
	s_endpgm
	.section	.rodata,"a",@progbits
	.p2align	6, 0x0
	.amdhsa_kernel _ZN2at6native28tensor_kernel_scan_outer_dimIN3c104HalfEmSt10multipliesIS3_EEEvPT_PKS6_jjjS6_T1_
		.amdhsa_group_segment_fixed_size 0
		.amdhsa_private_segment_fixed_size 0
		.amdhsa_kernarg_size 288
		.amdhsa_user_sgpr_count 2
		.amdhsa_user_sgpr_dispatch_ptr 0
		.amdhsa_user_sgpr_queue_ptr 0
		.amdhsa_user_sgpr_kernarg_segment_ptr 1
		.amdhsa_user_sgpr_dispatch_id 0
		.amdhsa_user_sgpr_kernarg_preload_length 0
		.amdhsa_user_sgpr_kernarg_preload_offset 0
		.amdhsa_user_sgpr_private_segment_size 0
		.amdhsa_uses_dynamic_stack 0
		.amdhsa_enable_private_segment 0
		.amdhsa_system_sgpr_workgroup_id_x 1
		.amdhsa_system_sgpr_workgroup_id_y 1
		.amdhsa_system_sgpr_workgroup_id_z 0
		.amdhsa_system_sgpr_workgroup_info 0
		.amdhsa_system_vgpr_workitem_id 0
		.amdhsa_next_free_vgpr 9
		.amdhsa_next_free_sgpr 29
		.amdhsa_accum_offset 12
		.amdhsa_reserve_vcc 1
		.amdhsa_float_round_mode_32 0
		.amdhsa_float_round_mode_16_64 0
		.amdhsa_float_denorm_mode_32 3
		.amdhsa_float_denorm_mode_16_64 3
		.amdhsa_dx10_clamp 1
		.amdhsa_ieee_mode 1
		.amdhsa_fp16_overflow 0
		.amdhsa_tg_split 0
		.amdhsa_exception_fp_ieee_invalid_op 0
		.amdhsa_exception_fp_denorm_src 0
		.amdhsa_exception_fp_ieee_div_zero 0
		.amdhsa_exception_fp_ieee_overflow 0
		.amdhsa_exception_fp_ieee_underflow 0
		.amdhsa_exception_fp_ieee_inexact 0
		.amdhsa_exception_int_div_zero 0
	.end_amdhsa_kernel
	.section	.text._ZN2at6native28tensor_kernel_scan_outer_dimIN3c104HalfEmSt10multipliesIS3_EEEvPT_PKS6_jjjS6_T1_,"axG",@progbits,_ZN2at6native28tensor_kernel_scan_outer_dimIN3c104HalfEmSt10multipliesIS3_EEEvPT_PKS6_jjjS6_T1_,comdat
.Lfunc_end89:
	.size	_ZN2at6native28tensor_kernel_scan_outer_dimIN3c104HalfEmSt10multipliesIS3_EEEvPT_PKS6_jjjS6_T1_, .Lfunc_end89-_ZN2at6native28tensor_kernel_scan_outer_dimIN3c104HalfEmSt10multipliesIS3_EEEvPT_PKS6_jjjS6_T1_
                                        ; -- End function
	.section	.AMDGPU.csdata,"",@progbits
; Kernel info:
; codeLenInByte = 316
; NumSgprs: 35
; NumVgprs: 9
; NumAgprs: 0
; TotalNumVgprs: 9
; ScratchSize: 0
; MemoryBound: 0
; FloatMode: 240
; IeeeMode: 1
; LDSByteSize: 0 bytes/workgroup (compile time only)
; SGPRBlocks: 4
; VGPRBlocks: 1
; NumSGPRsForWavesPerEU: 35
; NumVGPRsForWavesPerEU: 9
; AccumOffset: 12
; Occupancy: 8
; WaveLimiterHint : 0
; COMPUTE_PGM_RSRC2:SCRATCH_EN: 0
; COMPUTE_PGM_RSRC2:USER_SGPR: 2
; COMPUTE_PGM_RSRC2:TRAP_HANDLER: 0
; COMPUTE_PGM_RSRC2:TGID_X_EN: 1
; COMPUTE_PGM_RSRC2:TGID_Y_EN: 1
; COMPUTE_PGM_RSRC2:TGID_Z_EN: 0
; COMPUTE_PGM_RSRC2:TIDIG_COMP_CNT: 0
; COMPUTE_PGM_RSRC3_GFX90A:ACCUM_OFFSET: 2
; COMPUTE_PGM_RSRC3_GFX90A:TG_SPLIT: 0
	.section	.text._ZN7rocprim17ROCPRIM_304000_NS6detail31init_lookback_scan_state_kernelINS1_19lookback_scan_stateIN3c108BFloat16ELb1ELb1EEEEEvT_jjPNS7_10value_typeE,"axG",@progbits,_ZN7rocprim17ROCPRIM_304000_NS6detail31init_lookback_scan_state_kernelINS1_19lookback_scan_stateIN3c108BFloat16ELb1ELb1EEEEEvT_jjPNS7_10value_typeE,comdat
	.protected	_ZN7rocprim17ROCPRIM_304000_NS6detail31init_lookback_scan_state_kernelINS1_19lookback_scan_stateIN3c108BFloat16ELb1ELb1EEEEEvT_jjPNS7_10value_typeE ; -- Begin function _ZN7rocprim17ROCPRIM_304000_NS6detail31init_lookback_scan_state_kernelINS1_19lookback_scan_stateIN3c108BFloat16ELb1ELb1EEEEEvT_jjPNS7_10value_typeE
	.globl	_ZN7rocprim17ROCPRIM_304000_NS6detail31init_lookback_scan_state_kernelINS1_19lookback_scan_stateIN3c108BFloat16ELb1ELb1EEEEEvT_jjPNS7_10value_typeE
	.p2align	8
	.type	_ZN7rocprim17ROCPRIM_304000_NS6detail31init_lookback_scan_state_kernelINS1_19lookback_scan_stateIN3c108BFloat16ELb1ELb1EEEEEvT_jjPNS7_10value_typeE,@function
_ZN7rocprim17ROCPRIM_304000_NS6detail31init_lookback_scan_state_kernelINS1_19lookback_scan_stateIN3c108BFloat16ELb1ELb1EEEEEvT_jjPNS7_10value_typeE: ; @_ZN7rocprim17ROCPRIM_304000_NS6detail31init_lookback_scan_state_kernelINS1_19lookback_scan_stateIN3c108BFloat16ELb1ELb1EEEEEvT_jjPNS7_10value_typeE
; %bb.0:
	s_load_dword s3, s[0:1], 0x24
	s_load_dwordx2 s[8:9], s[0:1], 0x10
	s_load_dwordx4 s[4:7], s[0:1], 0x0
	s_waitcnt lgkmcnt(0)
	s_and_b32 s0, s3, 0xffff
	s_mul_i32 s2, s2, s0
	s_cmp_eq_u64 s[8:9], 0
	v_add_u32_e32 v0, s2, v0
	s_cbranch_scc1 .LBB90_9
; %bb.1:
	s_cmp_lt_u32 s7, s6
	s_cselect_b32 s0, s7, 0
	s_mov_b32 s3, 0
	v_cmp_eq_u32_e32 vcc, s0, v0
	s_and_saveexec_b64 s[0:1], vcc
	s_cbranch_execz .LBB90_8
; %bb.2:
	s_add_i32 s2, s7, 64
	s_lshl_b64 s[2:3], s[2:3], 2
	s_add_u32 s2, s4, s2
	s_addc_u32 s3, s5, s3
	v_mov_b32_e32 v1, 0
	global_load_dword v2, v1, s[2:3] sc1
	s_waitcnt vmcnt(0)
	v_and_b32_e32 v3, 0xff0000, v2
	v_cmp_ne_u32_e32 vcc, 0, v3
	s_cbranch_vccnz .LBB90_7
; %bb.3:
	s_mov_b32 s7, 1
.LBB90_4:                               ; =>This Loop Header: Depth=1
                                        ;     Child Loop BB90_5 Depth 2
	s_max_u32 s10, s7, 1
.LBB90_5:                               ;   Parent Loop BB90_4 Depth=1
                                        ; =>  This Inner Loop Header: Depth=2
	s_add_i32 s10, s10, -1
	s_cmp_eq_u32 s10, 0
	s_sleep 1
	s_cbranch_scc0 .LBB90_5
; %bb.6:                                ;   in Loop: Header=BB90_4 Depth=1
	global_load_dword v2, v1, s[2:3] sc1
	s_cmp_lt_u32 s7, 32
	s_cselect_b64 s[10:11], -1, 0
	s_cmp_lg_u64 s[10:11], 0
	s_addc_u32 s7, s7, 0
	s_waitcnt vmcnt(0)
	v_and_b32_e32 v3, 0xff0000, v2
	v_cmp_ne_u32_e32 vcc, 0, v3
	s_cbranch_vccz .LBB90_4
.LBB90_7:
	v_mov_b32_e32 v1, 0
	global_store_short v1, v2, s[8:9]
.LBB90_8:
	s_or_b64 exec, exec, s[0:1]
.LBB90_9:
	v_cmp_gt_u32_e32 vcc, s6, v0
	s_and_saveexec_b64 s[0:1], vcc
	s_cbranch_execnz .LBB90_12
; %bb.10:
	s_or_b64 exec, exec, s[0:1]
	v_cmp_gt_u32_e32 vcc, 64, v0
	s_and_saveexec_b64 s[0:1], vcc
	s_cbranch_execnz .LBB90_13
.LBB90_11:
	s_endpgm
.LBB90_12:
	v_add_u32_e32 v2, 64, v0
	v_mov_b32_e32 v3, 0
	v_lshl_add_u64 v[4:5], v[2:3], 2, s[4:5]
	global_store_dword v[4:5], v3, off
	s_or_b64 exec, exec, s[0:1]
	v_cmp_gt_u32_e32 vcc, 64, v0
	s_and_saveexec_b64 s[0:1], vcc
	s_cbranch_execz .LBB90_11
.LBB90_13:
	v_mov_b32_e32 v1, 0
	v_lshl_add_u64 v[0:1], v[0:1], 2, s[4:5]
	v_mov_b32_e32 v2, 0xff0000
	global_store_dword v[0:1], v2, off
	s_endpgm
	.section	.rodata,"a",@progbits
	.p2align	6, 0x0
	.amdhsa_kernel _ZN7rocprim17ROCPRIM_304000_NS6detail31init_lookback_scan_state_kernelINS1_19lookback_scan_stateIN3c108BFloat16ELb1ELb1EEEEEvT_jjPNS7_10value_typeE
		.amdhsa_group_segment_fixed_size 0
		.amdhsa_private_segment_fixed_size 0
		.amdhsa_kernarg_size 280
		.amdhsa_user_sgpr_count 2
		.amdhsa_user_sgpr_dispatch_ptr 0
		.amdhsa_user_sgpr_queue_ptr 0
		.amdhsa_user_sgpr_kernarg_segment_ptr 1
		.amdhsa_user_sgpr_dispatch_id 0
		.amdhsa_user_sgpr_kernarg_preload_length 0
		.amdhsa_user_sgpr_kernarg_preload_offset 0
		.amdhsa_user_sgpr_private_segment_size 0
		.amdhsa_uses_dynamic_stack 0
		.amdhsa_enable_private_segment 0
		.amdhsa_system_sgpr_workgroup_id_x 1
		.amdhsa_system_sgpr_workgroup_id_y 0
		.amdhsa_system_sgpr_workgroup_id_z 0
		.amdhsa_system_sgpr_workgroup_info 0
		.amdhsa_system_vgpr_workitem_id 0
		.amdhsa_next_free_vgpr 6
		.amdhsa_next_free_sgpr 12
		.amdhsa_accum_offset 8
		.amdhsa_reserve_vcc 1
		.amdhsa_float_round_mode_32 0
		.amdhsa_float_round_mode_16_64 0
		.amdhsa_float_denorm_mode_32 3
		.amdhsa_float_denorm_mode_16_64 3
		.amdhsa_dx10_clamp 1
		.amdhsa_ieee_mode 1
		.amdhsa_fp16_overflow 0
		.amdhsa_tg_split 0
		.amdhsa_exception_fp_ieee_invalid_op 0
		.amdhsa_exception_fp_denorm_src 0
		.amdhsa_exception_fp_ieee_div_zero 0
		.amdhsa_exception_fp_ieee_overflow 0
		.amdhsa_exception_fp_ieee_underflow 0
		.amdhsa_exception_fp_ieee_inexact 0
		.amdhsa_exception_int_div_zero 0
	.end_amdhsa_kernel
	.section	.text._ZN7rocprim17ROCPRIM_304000_NS6detail31init_lookback_scan_state_kernelINS1_19lookback_scan_stateIN3c108BFloat16ELb1ELb1EEEEEvT_jjPNS7_10value_typeE,"axG",@progbits,_ZN7rocprim17ROCPRIM_304000_NS6detail31init_lookback_scan_state_kernelINS1_19lookback_scan_stateIN3c108BFloat16ELb1ELb1EEEEEvT_jjPNS7_10value_typeE,comdat
.Lfunc_end90:
	.size	_ZN7rocprim17ROCPRIM_304000_NS6detail31init_lookback_scan_state_kernelINS1_19lookback_scan_stateIN3c108BFloat16ELb1ELb1EEEEEvT_jjPNS7_10value_typeE, .Lfunc_end90-_ZN7rocprim17ROCPRIM_304000_NS6detail31init_lookback_scan_state_kernelINS1_19lookback_scan_stateIN3c108BFloat16ELb1ELb1EEEEEvT_jjPNS7_10value_typeE
                                        ; -- End function
	.section	.AMDGPU.csdata,"",@progbits
; Kernel info:
; codeLenInByte = 312
; NumSgprs: 18
; NumVgprs: 6
; NumAgprs: 0
; TotalNumVgprs: 6
; ScratchSize: 0
; MemoryBound: 0
; FloatMode: 240
; IeeeMode: 1
; LDSByteSize: 0 bytes/workgroup (compile time only)
; SGPRBlocks: 2
; VGPRBlocks: 0
; NumSGPRsForWavesPerEU: 18
; NumVGPRsForWavesPerEU: 6
; AccumOffset: 8
; Occupancy: 8
; WaveLimiterHint : 0
; COMPUTE_PGM_RSRC2:SCRATCH_EN: 0
; COMPUTE_PGM_RSRC2:USER_SGPR: 2
; COMPUTE_PGM_RSRC2:TRAP_HANDLER: 0
; COMPUTE_PGM_RSRC2:TGID_X_EN: 1
; COMPUTE_PGM_RSRC2:TGID_Y_EN: 0
; COMPUTE_PGM_RSRC2:TGID_Z_EN: 0
; COMPUTE_PGM_RSRC2:TIDIG_COMP_CNT: 0
; COMPUTE_PGM_RSRC3_GFX90A:ACCUM_OFFSET: 1
; COMPUTE_PGM_RSRC3_GFX90A:TG_SPLIT: 0
	.section	.text._ZN7rocprim17ROCPRIM_304000_NS6detail31init_lookback_scan_state_kernelINS1_19lookback_scan_stateIN3c108BFloat16ELb0ELb1EEEEEvT_jjPNS7_10value_typeE,"axG",@progbits,_ZN7rocprim17ROCPRIM_304000_NS6detail31init_lookback_scan_state_kernelINS1_19lookback_scan_stateIN3c108BFloat16ELb0ELb1EEEEEvT_jjPNS7_10value_typeE,comdat
	.protected	_ZN7rocprim17ROCPRIM_304000_NS6detail31init_lookback_scan_state_kernelINS1_19lookback_scan_stateIN3c108BFloat16ELb0ELb1EEEEEvT_jjPNS7_10value_typeE ; -- Begin function _ZN7rocprim17ROCPRIM_304000_NS6detail31init_lookback_scan_state_kernelINS1_19lookback_scan_stateIN3c108BFloat16ELb0ELb1EEEEEvT_jjPNS7_10value_typeE
	.globl	_ZN7rocprim17ROCPRIM_304000_NS6detail31init_lookback_scan_state_kernelINS1_19lookback_scan_stateIN3c108BFloat16ELb0ELb1EEEEEvT_jjPNS7_10value_typeE
	.p2align	8
	.type	_ZN7rocprim17ROCPRIM_304000_NS6detail31init_lookback_scan_state_kernelINS1_19lookback_scan_stateIN3c108BFloat16ELb0ELb1EEEEEvT_jjPNS7_10value_typeE,@function
_ZN7rocprim17ROCPRIM_304000_NS6detail31init_lookback_scan_state_kernelINS1_19lookback_scan_stateIN3c108BFloat16ELb0ELb1EEEEEvT_jjPNS7_10value_typeE: ; @_ZN7rocprim17ROCPRIM_304000_NS6detail31init_lookback_scan_state_kernelINS1_19lookback_scan_stateIN3c108BFloat16ELb0ELb1EEEEEvT_jjPNS7_10value_typeE
; %bb.0:
	s_load_dword s3, s[0:1], 0x24
	s_load_dwordx2 s[8:9], s[0:1], 0x10
	s_load_dwordx4 s[4:7], s[0:1], 0x0
	s_waitcnt lgkmcnt(0)
	s_and_b32 s0, s3, 0xffff
	s_mul_i32 s2, s2, s0
	s_cmp_eq_u64 s[8:9], 0
	v_add_u32_e32 v0, s2, v0
	s_cbranch_scc1 .LBB91_6
; %bb.1:
	s_cmp_lt_u32 s7, s6
	s_cselect_b32 s0, s7, 0
	s_mov_b32 s3, 0
	v_cmp_eq_u32_e32 vcc, s0, v0
	s_and_saveexec_b64 s[0:1], vcc
	s_cbranch_execz .LBB91_5
; %bb.2:
	s_add_i32 s2, s7, 64
	s_lshl_b64 s[2:3], s[2:3], 2
	s_add_u32 s2, s4, s2
	s_addc_u32 s3, s5, s3
	v_mov_b32_e32 v2, 0
	global_load_dword v1, v2, s[2:3] sc1
	s_waitcnt vmcnt(0)
	v_and_b32_e32 v3, 0xff0000, v1
	v_cmp_ne_u32_e32 vcc, 0, v3
	s_cbranch_vccnz .LBB91_4
.LBB91_3:                               ; =>This Inner Loop Header: Depth=1
	global_load_dword v1, v2, s[2:3] sc1
	s_waitcnt vmcnt(0)
	v_and_b32_e32 v3, 0xff0000, v1
	v_cmp_eq_u32_e32 vcc, 0, v3
	s_cbranch_vccnz .LBB91_3
.LBB91_4:
	v_mov_b32_e32 v2, 0
	global_store_short v2, v1, s[8:9]
.LBB91_5:
	s_or_b64 exec, exec, s[0:1]
.LBB91_6:
	v_cmp_gt_u32_e32 vcc, s6, v0
	s_and_saveexec_b64 s[0:1], vcc
	s_cbranch_execnz .LBB91_9
; %bb.7:
	s_or_b64 exec, exec, s[0:1]
	v_cmp_gt_u32_e32 vcc, 64, v0
	s_and_saveexec_b64 s[0:1], vcc
	s_cbranch_execnz .LBB91_10
.LBB91_8:
	s_endpgm
.LBB91_9:
	v_add_u32_e32 v2, 64, v0
	v_mov_b32_e32 v3, 0
	v_lshl_add_u64 v[4:5], v[2:3], 2, s[4:5]
	global_store_dword v[4:5], v3, off
	s_or_b64 exec, exec, s[0:1]
	v_cmp_gt_u32_e32 vcc, 64, v0
	s_and_saveexec_b64 s[0:1], vcc
	s_cbranch_execz .LBB91_8
.LBB91_10:
	v_mov_b32_e32 v1, 0
	v_lshl_add_u64 v[0:1], v[0:1], 2, s[4:5]
	v_mov_b32_e32 v2, 0xff0000
	global_store_dword v[0:1], v2, off
	s_endpgm
	.section	.rodata,"a",@progbits
	.p2align	6, 0x0
	.amdhsa_kernel _ZN7rocprim17ROCPRIM_304000_NS6detail31init_lookback_scan_state_kernelINS1_19lookback_scan_stateIN3c108BFloat16ELb0ELb1EEEEEvT_jjPNS7_10value_typeE
		.amdhsa_group_segment_fixed_size 0
		.amdhsa_private_segment_fixed_size 0
		.amdhsa_kernarg_size 280
		.amdhsa_user_sgpr_count 2
		.amdhsa_user_sgpr_dispatch_ptr 0
		.amdhsa_user_sgpr_queue_ptr 0
		.amdhsa_user_sgpr_kernarg_segment_ptr 1
		.amdhsa_user_sgpr_dispatch_id 0
		.amdhsa_user_sgpr_kernarg_preload_length 0
		.amdhsa_user_sgpr_kernarg_preload_offset 0
		.amdhsa_user_sgpr_private_segment_size 0
		.amdhsa_uses_dynamic_stack 0
		.amdhsa_enable_private_segment 0
		.amdhsa_system_sgpr_workgroup_id_x 1
		.amdhsa_system_sgpr_workgroup_id_y 0
		.amdhsa_system_sgpr_workgroup_id_z 0
		.amdhsa_system_sgpr_workgroup_info 0
		.amdhsa_system_vgpr_workitem_id 0
		.amdhsa_next_free_vgpr 6
		.amdhsa_next_free_sgpr 10
		.amdhsa_accum_offset 8
		.amdhsa_reserve_vcc 1
		.amdhsa_float_round_mode_32 0
		.amdhsa_float_round_mode_16_64 0
		.amdhsa_float_denorm_mode_32 3
		.amdhsa_float_denorm_mode_16_64 3
		.amdhsa_dx10_clamp 1
		.amdhsa_ieee_mode 1
		.amdhsa_fp16_overflow 0
		.amdhsa_tg_split 0
		.amdhsa_exception_fp_ieee_invalid_op 0
		.amdhsa_exception_fp_denorm_src 0
		.amdhsa_exception_fp_ieee_div_zero 0
		.amdhsa_exception_fp_ieee_overflow 0
		.amdhsa_exception_fp_ieee_underflow 0
		.amdhsa_exception_fp_ieee_inexact 0
		.amdhsa_exception_int_div_zero 0
	.end_amdhsa_kernel
	.section	.text._ZN7rocprim17ROCPRIM_304000_NS6detail31init_lookback_scan_state_kernelINS1_19lookback_scan_stateIN3c108BFloat16ELb0ELb1EEEEEvT_jjPNS7_10value_typeE,"axG",@progbits,_ZN7rocprim17ROCPRIM_304000_NS6detail31init_lookback_scan_state_kernelINS1_19lookback_scan_stateIN3c108BFloat16ELb0ELb1EEEEEvT_jjPNS7_10value_typeE,comdat
.Lfunc_end91:
	.size	_ZN7rocprim17ROCPRIM_304000_NS6detail31init_lookback_scan_state_kernelINS1_19lookback_scan_stateIN3c108BFloat16ELb0ELb1EEEEEvT_jjPNS7_10value_typeE, .Lfunc_end91-_ZN7rocprim17ROCPRIM_304000_NS6detail31init_lookback_scan_state_kernelINS1_19lookback_scan_stateIN3c108BFloat16ELb0ELb1EEEEEvT_jjPNS7_10value_typeE
                                        ; -- End function
	.section	.AMDGPU.csdata,"",@progbits
; Kernel info:
; codeLenInByte = 272
; NumSgprs: 16
; NumVgprs: 6
; NumAgprs: 0
; TotalNumVgprs: 6
; ScratchSize: 0
; MemoryBound: 0
; FloatMode: 240
; IeeeMode: 1
; LDSByteSize: 0 bytes/workgroup (compile time only)
; SGPRBlocks: 1
; VGPRBlocks: 0
; NumSGPRsForWavesPerEU: 16
; NumVGPRsForWavesPerEU: 6
; AccumOffset: 8
; Occupancy: 8
; WaveLimiterHint : 0
; COMPUTE_PGM_RSRC2:SCRATCH_EN: 0
; COMPUTE_PGM_RSRC2:USER_SGPR: 2
; COMPUTE_PGM_RSRC2:TRAP_HANDLER: 0
; COMPUTE_PGM_RSRC2:TGID_X_EN: 1
; COMPUTE_PGM_RSRC2:TGID_Y_EN: 0
; COMPUTE_PGM_RSRC2:TGID_Z_EN: 0
; COMPUTE_PGM_RSRC2:TIDIG_COMP_CNT: 0
; COMPUTE_PGM_RSRC3_GFX90A:ACCUM_OFFSET: 1
; COMPUTE_PGM_RSRC3_GFX90A:TG_SPLIT: 0
	.section	.text._ZN7rocprim17ROCPRIM_304000_NS6detail20lookback_scan_kernelILNS1_25lookback_scan_determinismE0ELb0ENS1_19wrapped_scan_configINS0_14default_configEN3c108BFloat16EEEPKS7_PS7_St10multipliesIS7_ES7_S7_NS1_19lookback_scan_stateIS7_Lb1ELb1EEEEEvT2_T3_mT5_T4_T7_jPT6_SM_bb,"axG",@progbits,_ZN7rocprim17ROCPRIM_304000_NS6detail20lookback_scan_kernelILNS1_25lookback_scan_determinismE0ELb0ENS1_19wrapped_scan_configINS0_14default_configEN3c108BFloat16EEEPKS7_PS7_St10multipliesIS7_ES7_S7_NS1_19lookback_scan_stateIS7_Lb1ELb1EEEEEvT2_T3_mT5_T4_T7_jPT6_SM_bb,comdat
	.protected	_ZN7rocprim17ROCPRIM_304000_NS6detail20lookback_scan_kernelILNS1_25lookback_scan_determinismE0ELb0ENS1_19wrapped_scan_configINS0_14default_configEN3c108BFloat16EEEPKS7_PS7_St10multipliesIS7_ES7_S7_NS1_19lookback_scan_stateIS7_Lb1ELb1EEEEEvT2_T3_mT5_T4_T7_jPT6_SM_bb ; -- Begin function _ZN7rocprim17ROCPRIM_304000_NS6detail20lookback_scan_kernelILNS1_25lookback_scan_determinismE0ELb0ENS1_19wrapped_scan_configINS0_14default_configEN3c108BFloat16EEEPKS7_PS7_St10multipliesIS7_ES7_S7_NS1_19lookback_scan_stateIS7_Lb1ELb1EEEEEvT2_T3_mT5_T4_T7_jPT6_SM_bb
	.globl	_ZN7rocprim17ROCPRIM_304000_NS6detail20lookback_scan_kernelILNS1_25lookback_scan_determinismE0ELb0ENS1_19wrapped_scan_configINS0_14default_configEN3c108BFloat16EEEPKS7_PS7_St10multipliesIS7_ES7_S7_NS1_19lookback_scan_stateIS7_Lb1ELb1EEEEEvT2_T3_mT5_T4_T7_jPT6_SM_bb
	.p2align	8
	.type	_ZN7rocprim17ROCPRIM_304000_NS6detail20lookback_scan_kernelILNS1_25lookback_scan_determinismE0ELb0ENS1_19wrapped_scan_configINS0_14default_configEN3c108BFloat16EEEPKS7_PS7_St10multipliesIS7_ES7_S7_NS1_19lookback_scan_stateIS7_Lb1ELb1EEEEEvT2_T3_mT5_T4_T7_jPT6_SM_bb,@function
_ZN7rocprim17ROCPRIM_304000_NS6detail20lookback_scan_kernelILNS1_25lookback_scan_determinismE0ELb0ENS1_19wrapped_scan_configINS0_14default_configEN3c108BFloat16EEEPKS7_PS7_St10multipliesIS7_ES7_S7_NS1_19lookback_scan_stateIS7_Lb1ELb1EEEEEvT2_T3_mT5_T4_T7_jPT6_SM_bb: ; @_ZN7rocprim17ROCPRIM_304000_NS6detail20lookback_scan_kernelILNS1_25lookback_scan_determinismE0ELb0ENS1_19wrapped_scan_configINS0_14default_configEN3c108BFloat16EEEPKS7_PS7_St10multipliesIS7_ES7_S7_NS1_19lookback_scan_stateIS7_Lb1ELb1EEEEEvT2_T3_mT5_T4_T7_jPT6_SM_bb
; %bb.0:
	s_endpgm
	.section	.rodata,"a",@progbits
	.p2align	6, 0x0
	.amdhsa_kernel _ZN7rocprim17ROCPRIM_304000_NS6detail20lookback_scan_kernelILNS1_25lookback_scan_determinismE0ELb0ENS1_19wrapped_scan_configINS0_14default_configEN3c108BFloat16EEEPKS7_PS7_St10multipliesIS7_ES7_S7_NS1_19lookback_scan_stateIS7_Lb1ELb1EEEEEvT2_T3_mT5_T4_T7_jPT6_SM_bb
		.amdhsa_group_segment_fixed_size 0
		.amdhsa_private_segment_fixed_size 0
		.amdhsa_kernarg_size 68
		.amdhsa_user_sgpr_count 2
		.amdhsa_user_sgpr_dispatch_ptr 0
		.amdhsa_user_sgpr_queue_ptr 0
		.amdhsa_user_sgpr_kernarg_segment_ptr 1
		.amdhsa_user_sgpr_dispatch_id 0
		.amdhsa_user_sgpr_kernarg_preload_length 0
		.amdhsa_user_sgpr_kernarg_preload_offset 0
		.amdhsa_user_sgpr_private_segment_size 0
		.amdhsa_uses_dynamic_stack 0
		.amdhsa_enable_private_segment 0
		.amdhsa_system_sgpr_workgroup_id_x 1
		.amdhsa_system_sgpr_workgroup_id_y 0
		.amdhsa_system_sgpr_workgroup_id_z 0
		.amdhsa_system_sgpr_workgroup_info 0
		.amdhsa_system_vgpr_workitem_id 0
		.amdhsa_next_free_vgpr 1
		.amdhsa_next_free_sgpr 0
		.amdhsa_accum_offset 4
		.amdhsa_reserve_vcc 0
		.amdhsa_float_round_mode_32 0
		.amdhsa_float_round_mode_16_64 0
		.amdhsa_float_denorm_mode_32 3
		.amdhsa_float_denorm_mode_16_64 3
		.amdhsa_dx10_clamp 1
		.amdhsa_ieee_mode 1
		.amdhsa_fp16_overflow 0
		.amdhsa_tg_split 0
		.amdhsa_exception_fp_ieee_invalid_op 0
		.amdhsa_exception_fp_denorm_src 0
		.amdhsa_exception_fp_ieee_div_zero 0
		.amdhsa_exception_fp_ieee_overflow 0
		.amdhsa_exception_fp_ieee_underflow 0
		.amdhsa_exception_fp_ieee_inexact 0
		.amdhsa_exception_int_div_zero 0
	.end_amdhsa_kernel
	.section	.text._ZN7rocprim17ROCPRIM_304000_NS6detail20lookback_scan_kernelILNS1_25lookback_scan_determinismE0ELb0ENS1_19wrapped_scan_configINS0_14default_configEN3c108BFloat16EEEPKS7_PS7_St10multipliesIS7_ES7_S7_NS1_19lookback_scan_stateIS7_Lb1ELb1EEEEEvT2_T3_mT5_T4_T7_jPT6_SM_bb,"axG",@progbits,_ZN7rocprim17ROCPRIM_304000_NS6detail20lookback_scan_kernelILNS1_25lookback_scan_determinismE0ELb0ENS1_19wrapped_scan_configINS0_14default_configEN3c108BFloat16EEEPKS7_PS7_St10multipliesIS7_ES7_S7_NS1_19lookback_scan_stateIS7_Lb1ELb1EEEEEvT2_T3_mT5_T4_T7_jPT6_SM_bb,comdat
.Lfunc_end92:
	.size	_ZN7rocprim17ROCPRIM_304000_NS6detail20lookback_scan_kernelILNS1_25lookback_scan_determinismE0ELb0ENS1_19wrapped_scan_configINS0_14default_configEN3c108BFloat16EEEPKS7_PS7_St10multipliesIS7_ES7_S7_NS1_19lookback_scan_stateIS7_Lb1ELb1EEEEEvT2_T3_mT5_T4_T7_jPT6_SM_bb, .Lfunc_end92-_ZN7rocprim17ROCPRIM_304000_NS6detail20lookback_scan_kernelILNS1_25lookback_scan_determinismE0ELb0ENS1_19wrapped_scan_configINS0_14default_configEN3c108BFloat16EEEPKS7_PS7_St10multipliesIS7_ES7_S7_NS1_19lookback_scan_stateIS7_Lb1ELb1EEEEEvT2_T3_mT5_T4_T7_jPT6_SM_bb
                                        ; -- End function
	.section	.AMDGPU.csdata,"",@progbits
; Kernel info:
; codeLenInByte = 4
; NumSgprs: 6
; NumVgprs: 0
; NumAgprs: 0
; TotalNumVgprs: 0
; ScratchSize: 0
; MemoryBound: 0
; FloatMode: 240
; IeeeMode: 1
; LDSByteSize: 0 bytes/workgroup (compile time only)
; SGPRBlocks: 0
; VGPRBlocks: 0
; NumSGPRsForWavesPerEU: 6
; NumVGPRsForWavesPerEU: 1
; AccumOffset: 4
; Occupancy: 8
; WaveLimiterHint : 0
; COMPUTE_PGM_RSRC2:SCRATCH_EN: 0
; COMPUTE_PGM_RSRC2:USER_SGPR: 2
; COMPUTE_PGM_RSRC2:TRAP_HANDLER: 0
; COMPUTE_PGM_RSRC2:TGID_X_EN: 1
; COMPUTE_PGM_RSRC2:TGID_Y_EN: 0
; COMPUTE_PGM_RSRC2:TGID_Z_EN: 0
; COMPUTE_PGM_RSRC2:TIDIG_COMP_CNT: 0
; COMPUTE_PGM_RSRC3_GFX90A:ACCUM_OFFSET: 0
; COMPUTE_PGM_RSRC3_GFX90A:TG_SPLIT: 0
	.section	.text._ZN7rocprim17ROCPRIM_304000_NS6detail20lookback_scan_kernelILNS1_25lookback_scan_determinismE0ELb0ENS1_19wrapped_scan_configINS0_14default_configEN3c108BFloat16EEEPKS7_PS7_St10multipliesIS7_ES7_S7_NS1_19lookback_scan_stateIS7_Lb0ELb1EEEEEvT2_T3_mT5_T4_T7_jPT6_SM_bb,"axG",@progbits,_ZN7rocprim17ROCPRIM_304000_NS6detail20lookback_scan_kernelILNS1_25lookback_scan_determinismE0ELb0ENS1_19wrapped_scan_configINS0_14default_configEN3c108BFloat16EEEPKS7_PS7_St10multipliesIS7_ES7_S7_NS1_19lookback_scan_stateIS7_Lb0ELb1EEEEEvT2_T3_mT5_T4_T7_jPT6_SM_bb,comdat
	.protected	_ZN7rocprim17ROCPRIM_304000_NS6detail20lookback_scan_kernelILNS1_25lookback_scan_determinismE0ELb0ENS1_19wrapped_scan_configINS0_14default_configEN3c108BFloat16EEEPKS7_PS7_St10multipliesIS7_ES7_S7_NS1_19lookback_scan_stateIS7_Lb0ELb1EEEEEvT2_T3_mT5_T4_T7_jPT6_SM_bb ; -- Begin function _ZN7rocprim17ROCPRIM_304000_NS6detail20lookback_scan_kernelILNS1_25lookback_scan_determinismE0ELb0ENS1_19wrapped_scan_configINS0_14default_configEN3c108BFloat16EEEPKS7_PS7_St10multipliesIS7_ES7_S7_NS1_19lookback_scan_stateIS7_Lb0ELb1EEEEEvT2_T3_mT5_T4_T7_jPT6_SM_bb
	.globl	_ZN7rocprim17ROCPRIM_304000_NS6detail20lookback_scan_kernelILNS1_25lookback_scan_determinismE0ELb0ENS1_19wrapped_scan_configINS0_14default_configEN3c108BFloat16EEEPKS7_PS7_St10multipliesIS7_ES7_S7_NS1_19lookback_scan_stateIS7_Lb0ELb1EEEEEvT2_T3_mT5_T4_T7_jPT6_SM_bb
	.p2align	8
	.type	_ZN7rocprim17ROCPRIM_304000_NS6detail20lookback_scan_kernelILNS1_25lookback_scan_determinismE0ELb0ENS1_19wrapped_scan_configINS0_14default_configEN3c108BFloat16EEEPKS7_PS7_St10multipliesIS7_ES7_S7_NS1_19lookback_scan_stateIS7_Lb0ELb1EEEEEvT2_T3_mT5_T4_T7_jPT6_SM_bb,@function
_ZN7rocprim17ROCPRIM_304000_NS6detail20lookback_scan_kernelILNS1_25lookback_scan_determinismE0ELb0ENS1_19wrapped_scan_configINS0_14default_configEN3c108BFloat16EEEPKS7_PS7_St10multipliesIS7_ES7_S7_NS1_19lookback_scan_stateIS7_Lb0ELb1EEEEEvT2_T3_mT5_T4_T7_jPT6_SM_bb: ; @_ZN7rocprim17ROCPRIM_304000_NS6detail20lookback_scan_kernelILNS1_25lookback_scan_determinismE0ELb0ENS1_19wrapped_scan_configINS0_14default_configEN3c108BFloat16EEEPKS7_PS7_St10multipliesIS7_ES7_S7_NS1_19lookback_scan_stateIS7_Lb0ELb1EEEEEvT2_T3_mT5_T4_T7_jPT6_SM_bb
; %bb.0:
	s_load_dword s3, s[0:1], 0x28
	s_load_dwordx4 s[4:7], s[0:1], 0x0
	s_load_dwordx2 s[8:9], s[0:1], 0x10
	s_mul_i32 s10, s2, 0x1800
	s_mov_b32 s11, 0
	s_waitcnt lgkmcnt(0)
	s_add_i32 s3, s3, -1
	s_mul_i32 s12, s3, 0x1800
	s_sub_u32 s20, s8, s12
	s_subb_u32 s21, s9, 0
	s_cmp_lg_u32 s2, s3
	s_cselect_b64 s[12:13], -1, 0
	s_lshl_b64 s[14:15], s[10:11], 1
	s_add_u32 s8, s4, s14
	s_addc_u32 s9, s5, s15
	s_mov_b64 s[4:5], -1
	s_and_b64 vcc, exec, s[12:13]
	v_lshlrev_b32_e32 v14, 1, v0
	s_cbranch_vccz .LBB93_2
; %bb.1:
	v_mov_b32_e32 v15, 0
	v_lshl_add_u64 v[2:3], s[8:9], 0, v[14:15]
	v_add_co_u32_e32 v4, vcc, 0x1000, v2
	global_load_ushort v1, v14, s[8:9]
	global_load_ushort v6, v14, s[8:9] offset:512
	global_load_ushort v7, v14, s[8:9] offset:1024
	;; [unrolled: 1-line block ×7, first 2 shown]
	v_addc_co_u32_e32 v5, vcc, 0, v3, vcc
	v_add_co_u32_e32 v2, vcc, 0x2000, v2
	global_load_ushort v13, v[4:5], off
	global_load_ushort v15, v[4:5], off offset:512
	global_load_ushort v16, v[4:5], off offset:1024
	;; [unrolled: 1-line block ×7, first 2 shown]
	v_addc_co_u32_e32 v3, vcc, 0, v3, vcc
	global_load_ushort v4, v[2:3], off
	global_load_ushort v5, v[2:3], off offset:512
	global_load_ushort v22, v[2:3], off offset:1024
	;; [unrolled: 1-line block ×7, first 2 shown]
	s_mov_b64 s[4:5], 0
	s_waitcnt vmcnt(23)
	ds_write_b16 v14, v1
	s_waitcnt vmcnt(22)
	ds_write_b16 v14, v6 offset:512
	s_waitcnt vmcnt(21)
	ds_write_b16 v14, v7 offset:1024
	s_waitcnt vmcnt(20)
	ds_write_b16 v14, v8 offset:1536
	s_waitcnt vmcnt(19)
	ds_write_b16 v14, v9 offset:2048
	s_waitcnt vmcnt(18)
	ds_write_b16 v14, v10 offset:2560
	s_waitcnt vmcnt(17)
	ds_write_b16 v14, v11 offset:3072
	s_waitcnt vmcnt(16)
	ds_write_b16 v14, v12 offset:3584
	s_waitcnt vmcnt(15)
	ds_write_b16 v14, v13 offset:4096
	s_waitcnt vmcnt(14)
	ds_write_b16 v14, v15 offset:4608
	s_waitcnt vmcnt(13)
	ds_write_b16 v14, v16 offset:5120
	s_waitcnt vmcnt(12)
	ds_write_b16 v14, v17 offset:5632
	s_waitcnt vmcnt(11)
	ds_write_b16 v14, v18 offset:6144
	s_waitcnt vmcnt(10)
	ds_write_b16 v14, v19 offset:6656
	s_waitcnt vmcnt(9)
	ds_write_b16 v14, v20 offset:7168
	s_waitcnt vmcnt(8)
	ds_write_b16 v14, v21 offset:7680
	s_waitcnt vmcnt(7)
	ds_write_b16 v14, v4 offset:8192
	s_waitcnt vmcnt(6)
	ds_write_b16 v14, v5 offset:8704
	s_waitcnt vmcnt(5)
	ds_write_b16 v14, v22 offset:9216
	s_waitcnt vmcnt(4)
	ds_write_b16 v14, v23 offset:9728
	s_waitcnt vmcnt(3)
	ds_write_b16 v14, v24 offset:10240
	s_waitcnt vmcnt(2)
	ds_write_b16 v14, v25 offset:10752
	s_waitcnt vmcnt(1)
	ds_write_b16 v14, v26 offset:11264
	s_waitcnt vmcnt(0)
	ds_write_b16 v14, v27 offset:11776
	s_waitcnt lgkmcnt(0)
	s_barrier
.LBB93_2:
	s_andn2_b64 vcc, exec, s[4:5]
	v_cmp_gt_u32_e64 s[4:5], s20, v0
	s_cbranch_vccnz .LBB93_52
; %bb.3:
	v_mov_b32_e32 v15, 0
	global_load_ushort v1, v15, s[8:9]
	v_lshl_add_u64 v[2:3], s[8:9], 0, v[14:15]
	s_waitcnt vmcnt(0)
	v_mov_b32_e32 v4, v1
	s_and_saveexec_b64 s[8:9], s[4:5]
	s_cbranch_execz .LBB93_5
; %bb.4:
	global_load_ushort v4, v[2:3], off
.LBB93_5:
	s_or_b64 exec, exec, s[8:9]
	v_or_b32_e32 v5, 0x100, v0
	v_cmp_gt_u32_e32 vcc, s20, v5
	v_mov_b32_e32 v5, v1
	s_and_saveexec_b64 s[4:5], vcc
	s_cbranch_execz .LBB93_7
; %bb.6:
	global_load_ushort v5, v[2:3], off offset:512
.LBB93_7:
	s_or_b64 exec, exec, s[4:5]
	v_or_b32_e32 v6, 0x200, v0
	v_cmp_gt_u32_e32 vcc, s20, v6
	v_mov_b32_e32 v6, v1
	s_and_saveexec_b64 s[4:5], vcc
	s_cbranch_execz .LBB93_9
; %bb.8:
	global_load_ushort v6, v[2:3], off offset:1024
.LBB93_9:
	;; [unrolled: 9-line block ×7, first 2 shown]
	s_or_b64 exec, exec, s[4:5]
	v_or_b32_e32 v12, 0x800, v0
	v_cmp_gt_u32_e32 vcc, s20, v12
	v_mov_b32_e32 v12, v1
	s_and_saveexec_b64 s[4:5], vcc
	s_cbranch_execz .LBB93_21
; %bb.20:
	v_add_co_u32_e32 v12, vcc, 0x1000, v2
	s_nop 1
	v_addc_co_u32_e32 v13, vcc, 0, v3, vcc
	global_load_ushort v12, v[12:13], off
.LBB93_21:
	s_or_b64 exec, exec, s[4:5]
	v_or_b32_e32 v13, 0x900, v0
	v_cmp_gt_u32_e32 vcc, s20, v13
	v_mov_b32_e32 v13, v1
	s_and_saveexec_b64 s[4:5], vcc
	s_cbranch_execz .LBB93_23
; %bb.22:
	v_add_co_u32_e32 v16, vcc, 0x1000, v2
	s_nop 1
	v_addc_co_u32_e32 v17, vcc, 0, v3, vcc
	global_load_ushort v13, v[16:17], off offset:512
.LBB93_23:
	s_or_b64 exec, exec, s[4:5]
	v_or_b32_e32 v15, 0xa00, v0
	v_cmp_gt_u32_e32 vcc, s20, v15
	v_mov_b32_e32 v15, v1
	s_and_saveexec_b64 s[4:5], vcc
	s_cbranch_execz .LBB93_25
; %bb.24:
	v_add_co_u32_e32 v16, vcc, 0x1000, v2
	s_nop 1
	v_addc_co_u32_e32 v17, vcc, 0, v3, vcc
	global_load_ushort v15, v[16:17], off offset:1024
.LBB93_25:
	;; [unrolled: 12-line block ×7, first 2 shown]
	s_or_b64 exec, exec, s[4:5]
	v_or_b32_e32 v21, 0x1000, v0
	v_cmp_gt_u32_e32 vcc, s20, v21
	v_mov_b32_e32 v21, v1
	s_and_saveexec_b64 s[4:5], vcc
	s_cbranch_execz .LBB93_37
; %bb.36:
	v_add_co_u32_e32 v22, vcc, 0x2000, v2
	s_nop 1
	v_addc_co_u32_e32 v23, vcc, 0, v3, vcc
	global_load_ushort v21, v[22:23], off
.LBB93_37:
	s_or_b64 exec, exec, s[4:5]
	v_or_b32_e32 v22, 0x1100, v0
	v_cmp_gt_u32_e32 vcc, s20, v22
	v_mov_b32_e32 v22, v1
	s_and_saveexec_b64 s[4:5], vcc
	s_cbranch_execz .LBB93_39
; %bb.38:
	v_add_co_u32_e32 v22, vcc, 0x2000, v2
	s_nop 1
	v_addc_co_u32_e32 v23, vcc, 0, v3, vcc
	global_load_ushort v22, v[22:23], off offset:512
.LBB93_39:
	s_or_b64 exec, exec, s[4:5]
	v_or_b32_e32 v23, 0x1200, v0
	v_cmp_gt_u32_e32 vcc, s20, v23
	v_mov_b32_e32 v23, v1
	s_and_saveexec_b64 s[4:5], vcc
	s_cbranch_execz .LBB93_41
; %bb.40:
	v_add_co_u32_e32 v24, vcc, 0x2000, v2
	s_nop 1
	v_addc_co_u32_e32 v25, vcc, 0, v3, vcc
	global_load_ushort v23, v[24:25], off offset:1024
.LBB93_41:
	;; [unrolled: 12-line block ×6, first 2 shown]
	s_or_b64 exec, exec, s[4:5]
	v_or_b32_e32 v28, 0x1700, v0
	v_cmp_gt_u32_e32 vcc, s20, v28
	s_and_saveexec_b64 s[4:5], vcc
	s_cbranch_execz .LBB93_51
; %bb.50:
	v_add_co_u32_e32 v2, vcc, 0x2000, v2
	s_nop 1
	v_addc_co_u32_e32 v3, vcc, 0, v3, vcc
	global_load_ushort v1, v[2:3], off offset:3584
.LBB93_51:
	s_or_b64 exec, exec, s[4:5]
	s_waitcnt vmcnt(0)
	ds_write_b16 v14, v4
	ds_write_b16 v14, v5 offset:512
	ds_write_b16 v14, v6 offset:1024
	;; [unrolled: 1-line block ×23, first 2 shown]
	s_waitcnt lgkmcnt(0)
	s_barrier
.LBB93_52:
	v_mul_u32_u24_e32 v22, 24, v0
	v_lshlrev_b32_e32 v1, 1, v22
	ds_read_b128 v[10:13], v1
	ds_read_b128 v[6:9], v1 offset:16
	ds_read_b128 v[2:5], v1 offset:32
	s_load_dwordx2 s[16:17], s[0:1], 0x20
	s_cmp_lg_u32 s2, 0
	v_mbcnt_lo_u32_b32 v15, -1, 0
	s_waitcnt lgkmcnt(0)
	s_barrier
	s_cbranch_scc0 .LBB93_121
; %bb.53:
	v_and_b32_e32 v23, 0xffff0000, v10
	v_lshlrev_b32_e32 v46, 16, v10
	v_mul_f32_e32 v16, v23, v46
	v_bfe_u32 v17, v16, 16, 1
	s_movk_i32 s3, 0x7fff
	v_add3_u32 v17, v16, v17, s3
	v_and_b32_e32 v17, 0xffff0000, v17
	v_mov_b32_e32 v18, 0x7fc00000
	v_cmp_o_f32_e32 vcc, v16, v16
	v_mov_b32_e32 v20, 0x7fc0
	s_nop 0
	v_cndmask_b32_e32 v16, v18, v17, vcc
	v_mov_b32_e32 v17, 16
	v_lshlrev_b32_sdwa v24, v17, v11 dst_sel:DWORD dst_unused:UNUSED_PAD src0_sel:DWORD src1_sel:WORD_0
	v_mul_f32_e32 v16, v16, v24
	v_bfe_u32 v19, v16, 16, 1
	v_add3_u32 v19, v16, v19, s3
	v_and_b32_e32 v19, 0xffff0000, v19
	v_cmp_o_f32_e32 vcc, v16, v16
	v_lshlrev_b32_sdwa v25, v17, v11 dst_sel:DWORD dst_unused:UNUSED_PAD src0_sel:DWORD src1_sel:WORD_1
	v_lshlrev_b32_sdwa v26, v17, v12 dst_sel:DWORD dst_unused:UNUSED_PAD src0_sel:DWORD src1_sel:WORD_0
	v_cndmask_b32_e32 v16, v18, v19, vcc
	v_mul_f32_e32 v16, v16, v25
	v_bfe_u32 v19, v16, 16, 1
	v_add3_u32 v19, v16, v19, s3
	v_and_b32_e32 v19, 0xffff0000, v19
	v_cmp_o_f32_e32 vcc, v16, v16
	v_lshlrev_b32_sdwa v27, v17, v12 dst_sel:DWORD dst_unused:UNUSED_PAD src0_sel:DWORD src1_sel:WORD_1
	v_lshlrev_b32_sdwa v28, v17, v13 dst_sel:DWORD dst_unused:UNUSED_PAD src0_sel:DWORD src1_sel:WORD_0
	v_cndmask_b32_e32 v16, v18, v19, vcc
	;; [unrolled: 8-line block ×10, first 2 shown]
	v_mul_f32_e32 v16, v16, v34
	v_bfe_u32 v19, v16, 16, 1
	v_add3_u32 v19, v16, v19, s3
	v_and_b32_e32 v19, 0xffff0000, v19
	v_cmp_o_f32_e32 vcc, v16, v16
	v_lshlrev_b32_sdwa v45, v17, v5 dst_sel:DWORD dst_unused:UNUSED_PAD src0_sel:DWORD src1_sel:WORD_1
	s_nop 0
	v_cndmask_b32_e32 v16, v18, v19, vcc
	v_mul_f32_e32 v16, v16, v35
	v_bfe_u32 v19, v16, 16, 1
	v_add3_u32 v19, v16, v19, s3
	v_and_b32_e32 v19, 0xffff0000, v19
	v_cmp_o_f32_e32 vcc, v16, v16
	s_nop 1
	v_cndmask_b32_e32 v16, v18, v19, vcc
	v_mul_f32_e32 v16, v16, v36
	v_bfe_u32 v19, v16, 16, 1
	v_add3_u32 v19, v16, v19, s3
	v_and_b32_e32 v19, 0xffff0000, v19
	v_cmp_o_f32_e32 vcc, v16, v16
	;; [unrolled: 7-line block ×10, first 2 shown]
	s_nop 1
	v_cndmask_b32_e32 v16, v18, v19, vcc
	v_mul_f32_e32 v16, v16, v45
	v_bfe_u32 v17, v16, 16, 1
	v_add3_u32 v17, v16, v17, s3
	v_lshrrev_b32_e32 v17, 16, v17
	v_cmp_o_f32_e32 vcc, v16, v16
	s_nop 1
	v_cndmask_b32_e32 v16, v20, v17, vcc
	v_mbcnt_hi_u32_b32 v17, -1, v15
	v_and_b32_e32 v19, 15, v17
	v_and_b32_e32 v18, 0xffff, v16
	v_cmp_ne_u32_e32 vcc, 0, v19
	s_nop 0
	v_mov_b32_dpp v21, v18 row_shr:1 row_mask:0xf bank_mask:0xf
	s_and_saveexec_b64 s[4:5], vcc
; %bb.54:
	v_lshlrev_b32_e32 v16, 16, v18
	v_lshlrev_b32_e32 v18, 16, v21
	v_mul_f32_e32 v16, v18, v16
	v_bfe_u32 v18, v16, 16, 1
	v_add3_u32 v18, v16, v18, s3
	v_lshrrev_b32_e32 v18, 16, v18
	v_cmp_o_f32_e32 vcc, v16, v16
	s_nop 1
	v_cndmask_b32_e32 v16, v20, v18, vcc
	v_and_b32_e32 v18, 0xffff, v16
; %bb.55:
	s_or_b64 exec, exec, s[4:5]
	s_nop 0
	v_mov_b32_dpp v20, v18 row_shr:2 row_mask:0xf bank_mask:0xf
	v_cmp_lt_u32_e32 vcc, 1, v19
	s_and_saveexec_b64 s[4:5], vcc
; %bb.56:
	v_lshlrev_b32_e32 v16, 16, v18
	v_lshlrev_b32_e32 v18, 16, v20
	v_mul_f32_e32 v16, v18, v16
	v_bfe_u32 v18, v16, 16, 1
	v_add3_u32 v18, v16, v18, s3
	v_lshrrev_b32_e32 v18, 16, v18
	v_mov_b32_e32 v20, 0x7fc0
	v_cmp_o_f32_e32 vcc, v16, v16
	s_nop 1
	v_cndmask_b32_e32 v16, v20, v18, vcc
	v_and_b32_e32 v18, 0xffff, v16
; %bb.57:
	s_or_b64 exec, exec, s[4:5]
	s_nop 0
	v_mov_b32_dpp v20, v18 row_shr:4 row_mask:0xf bank_mask:0xf
	v_cmp_lt_u32_e32 vcc, 3, v19
	s_and_saveexec_b64 s[4:5], vcc
; %bb.58:
	v_lshlrev_b32_e32 v16, 16, v18
	v_lshlrev_b32_e32 v18, 16, v20
	v_mul_f32_e32 v16, v18, v16
	v_bfe_u32 v18, v16, 16, 1
	v_add3_u32 v18, v16, v18, s3
	v_lshrrev_b32_e32 v18, 16, v18
	v_mov_b32_e32 v20, 0x7fc0
	;; [unrolled: 18-line block ×3, first 2 shown]
	v_cmp_o_f32_e32 vcc, v16, v16
	s_nop 1
	v_cndmask_b32_e32 v16, v19, v18, vcc
	v_and_b32_e32 v18, 0xffff, v16
; %bb.61:
	s_or_b64 exec, exec, s[4:5]
	v_and_b32_e32 v20, 16, v17
	v_mov_b32_dpp v19, v18 row_bcast:15 row_mask:0xf bank_mask:0xf
	v_cmp_ne_u32_e32 vcc, 0, v20
	s_and_saveexec_b64 s[4:5], vcc
; %bb.62:
	v_lshlrev_b32_e32 v16, 16, v18
	v_lshlrev_b32_e32 v18, 16, v19
	v_mul_f32_e32 v16, v18, v16
	v_bfe_u32 v18, v16, 16, 1
	v_add3_u32 v18, v16, v18, s3
	v_lshrrev_b32_e32 v18, 16, v18
	v_mov_b32_e32 v19, 0x7fc0
	v_cmp_o_f32_e32 vcc, v16, v16
	s_nop 1
	v_cndmask_b32_e32 v16, v19, v18, vcc
	v_and_b32_e32 v18, 0xffff, v16
; %bb.63:
	s_or_b64 exec, exec, s[4:5]
	s_nop 0
	v_mov_b32_dpp v19, v18 row_bcast:31 row_mask:0xf bank_mask:0xf
	v_cmp_lt_u32_e32 vcc, 31, v17
	s_and_saveexec_b64 s[4:5], vcc
; %bb.64:
	v_lshlrev_b32_e32 v16, 16, v18
	v_lshlrev_b32_e32 v18, 16, v19
	v_mul_f32_e32 v16, v18, v16
	v_bfe_u32 v18, v16, 16, 1
	v_add3_u32 v18, v16, v18, s3
	v_lshrrev_b32_e32 v18, 16, v18
	v_mov_b32_e32 v19, 0x7fc0
	v_cmp_o_f32_e32 vcc, v16, v16
	s_nop 1
	v_cndmask_b32_e32 v16, v19, v18, vcc
; %bb.65:
	s_or_b64 exec, exec, s[4:5]
	v_or_b32_e32 v19, 63, v0
	v_lshrrev_b32_e32 v18, 6, v0
	v_cmp_eq_u32_e32 vcc, v19, v0
	s_and_saveexec_b64 s[4:5], vcc
	s_cbranch_execz .LBB93_67
; %bb.66:
	v_lshlrev_b32_e32 v19, 1, v18
	ds_write_b16 v19, v16
.LBB93_67:
	s_or_b64 exec, exec, s[4:5]
	v_cmp_gt_u32_e32 vcc, 4, v0
	s_waitcnt lgkmcnt(0)
	s_barrier
	s_and_saveexec_b64 s[4:5], vcc
	s_cbranch_execz .LBB93_73
; %bb.68:
	ds_read_u16 v19, v14
	v_and_b32_e32 v20, 3, v17
	v_cmp_ne_u32_e32 vcc, 0, v20
	s_waitcnt lgkmcnt(0)
	v_and_b32_e32 v21, 0xffff, v19
	s_nop 1
	v_mov_b32_dpp v47, v21 row_shr:1 row_mask:0xf bank_mask:0xf
	s_and_saveexec_b64 s[8:9], vcc
; %bb.69:
	v_lshlrev_b32_e32 v19, 16, v21
	v_lshlrev_b32_e32 v21, 16, v47
	v_mul_f32_e32 v19, v21, v19
	v_bfe_u32 v21, v19, 16, 1
	v_add3_u32 v21, v19, v21, s3
	v_lshrrev_b32_e32 v21, 16, v21
	v_mov_b32_e32 v47, 0x7fc0
	v_cmp_o_f32_e32 vcc, v19, v19
	s_nop 1
	v_cndmask_b32_e32 v19, v47, v21, vcc
	v_and_b32_e32 v21, 0xffff, v19
; %bb.70:
	s_or_b64 exec, exec, s[8:9]
	s_nop 0
	v_mov_b32_dpp v47, v21 row_shr:2 row_mask:0xf bank_mask:0xf
	v_cmp_lt_u32_e32 vcc, 1, v20
	s_and_saveexec_b64 s[8:9], vcc
; %bb.71:
	v_lshlrev_b32_e32 v19, 16, v21
	v_lshlrev_b32_e32 v20, 16, v47
	v_mul_f32_e32 v19, v20, v19
	v_bfe_u32 v20, v19, 16, 1
	v_add3_u32 v20, v19, v20, s3
	v_lshrrev_b32_e32 v20, 16, v20
	v_mov_b32_e32 v21, 0x7fc0
	v_cmp_o_f32_e32 vcc, v19, v19
	s_nop 1
	v_cndmask_b32_e32 v19, v21, v20, vcc
; %bb.72:
	s_or_b64 exec, exec, s[8:9]
	ds_write_b16 v14, v19
.LBB93_73:
	s_or_b64 exec, exec, s[4:5]
	v_cmp_gt_u32_e32 vcc, 64, v0
	v_cmp_lt_u32_e64 s[4:5], 63, v0
	s_waitcnt lgkmcnt(0)
	s_barrier
	s_waitcnt lgkmcnt(0)
                                        ; implicit-def: $vgpr47
	s_and_saveexec_b64 s[8:9], s[4:5]
	s_cbranch_execz .LBB93_75
; %bb.74:
	v_lshl_add_u32 v18, v18, 1, -2
	ds_read_u16 v47, v18
	v_lshlrev_b32_e32 v16, 16, v16
	v_mov_b32_e32 v18, 0x7fc0
	s_waitcnt lgkmcnt(0)
	v_lshlrev_b32_e32 v19, 16, v47
	v_mul_f32_e32 v16, v19, v16
	v_bfe_u32 v19, v16, 16, 1
	v_add3_u32 v19, v16, v19, s3
	v_lshrrev_b32_e32 v19, 16, v19
	v_cmp_o_f32_e64 s[4:5], v16, v16
	s_nop 1
	v_cndmask_b32_e64 v16, v18, v19, s[4:5]
.LBB93_75:
	s_or_b64 exec, exec, s[8:9]
	v_add_u32_e32 v18, -1, v17
	v_and_b32_e32 v19, 64, v17
	v_cmp_lt_i32_e64 s[4:5], v18, v19
	v_and_b32_e32 v16, 0xffff, v16
	s_nop 0
	v_cndmask_b32_e64 v18, v18, v17, s[4:5]
	v_lshlrev_b32_e32 v18, 2, v18
	ds_bpermute_b32 v48, v18, v16
	v_cmp_eq_u32_e64 s[4:5], 0, v17
	s_and_saveexec_b64 s[8:9], vcc
	s_cbranch_execz .LBB93_118
; %bb.76:
	v_mov_b32_e32 v19, 0
	ds_read_u16 v49, v19 offset:6
	s_and_saveexec_b64 s[10:11], s[4:5]
	s_cbranch_execz .LBB93_78
; %bb.77:
	s_add_i32 s18, s2, 64
	s_mov_b32 s19, 0
	s_lshl_b64 s[18:19], s[18:19], 2
	s_add_u32 s18, s16, s18
	s_addc_u32 s19, s17, s19
	s_waitcnt lgkmcnt(0)
	v_or_b32_e32 v16, 0x10000, v49
	global_store_dword v19, v16, s[18:19] sc1
.LBB93_78:
	s_or_b64 exec, exec, s[10:11]
	v_xad_u32 v16, v17, -1, s2
	v_add_u32_e32 v18, 64, v16
	v_lshl_add_u64 v[20:21], v[18:19], 2, s[16:17]
	global_load_dword v66, v[20:21], off sc1
	s_waitcnt vmcnt(0)
	v_lshrrev_b32_e32 v50, 16, v66
	v_cmp_eq_u16_sdwa s[18:19], v50, v19 src0_sel:BYTE_0 src1_sel:DWORD
	s_and_saveexec_b64 s[10:11], s[18:19]
	s_cbranch_execz .LBB93_82
; %bb.79:
	s_mov_b64 s[18:19], 0
	v_mov_b32_e32 v18, 0
.LBB93_80:                              ; =>This Inner Loop Header: Depth=1
	global_load_dword v66, v[20:21], off sc1
	s_waitcnt vmcnt(0)
	v_lshrrev_b32_e32 v50, 16, v66
	v_cmp_ne_u16_sdwa s[22:23], v50, v18 src0_sel:BYTE_0 src1_sel:DWORD
	s_or_b64 s[18:19], s[22:23], s[18:19]
	s_andn2_b64 exec, exec, s[18:19]
	s_cbranch_execnz .LBB93_80
; %bb.81:
	s_or_b64 exec, exec, s[18:19]
.LBB93_82:
	s_or_b64 exec, exec, s[10:11]
	v_mov_b32_e32 v18, 2
	v_cmp_eq_u16_sdwa s[10:11], v50, v18 src0_sel:BYTE_0 src1_sel:DWORD
	v_lshlrev_b64 v[18:19], v17, -1
	v_and_b32_e32 v63, 0xffff, v66
	v_and_b32_e32 v20, s11, v19
	v_or_b32_e32 v20, 0x80000000, v20
	v_ffbl_b32_e32 v20, v20
	v_add_u32_e32 v52, 32, v20
	v_and_b32_e32 v20, 63, v17
	v_cmp_ne_u32_e32 vcc, 63, v20
	v_and_b32_e32 v21, s10, v18
	v_ffbl_b32_e32 v21, v21
	v_addc_co_u32_e32 v51, vcc, 0, v17, vcc
	v_lshlrev_b32_e32 v51, 2, v51
	ds_bpermute_b32 v53, v51, v63
	v_min_u32_e32 v21, v21, v52
	v_add_u32_e32 v52, 1, v17
	v_cmp_le_u32_e32 vcc, v52, v21
	s_and_saveexec_b64 s[10:11], vcc
	s_cbranch_execz .LBB93_84
; %bb.83:
	v_lshlrev_b32_e32 v54, 16, v63
	s_waitcnt lgkmcnt(0)
	v_lshlrev_b32_e32 v53, 16, v53
	v_mul_f32_e32 v53, v53, v54
	v_bfe_u32 v54, v53, 16, 1
	s_movk_i32 s3, 0x7fff
	v_add3_u32 v54, v53, v54, s3
	v_lshrrev_b32_e32 v54, 16, v54
	v_mov_b32_e32 v55, 0x7fc0
	v_cmp_o_f32_e32 vcc, v53, v53
	s_nop 1
	v_cndmask_b32_e32 v66, v55, v54, vcc
	v_and_b32_e32 v63, 0xffff, v66
.LBB93_84:
	s_or_b64 exec, exec, s[10:11]
	v_cmp_gt_u32_e32 vcc, 62, v20
	v_add_u32_e32 v54, 2, v17
	s_waitcnt lgkmcnt(0)
	v_cndmask_b32_e64 v53, 0, 1, vcc
	v_lshlrev_b32_e32 v53, 1, v53
	v_add_lshl_u32 v53, v53, v17, 2
	ds_bpermute_b32 v55, v53, v63
	v_cmp_le_u32_e32 vcc, v54, v21
	s_and_saveexec_b64 s[10:11], vcc
	s_cbranch_execz .LBB93_86
; %bb.85:
	v_lshlrev_b32_e32 v56, 16, v63
	s_waitcnt lgkmcnt(0)
	v_lshlrev_b32_e32 v55, 16, v55
	v_mul_f32_e32 v55, v55, v56
	v_bfe_u32 v56, v55, 16, 1
	s_movk_i32 s3, 0x7fff
	v_add3_u32 v56, v55, v56, s3
	v_lshrrev_b32_e32 v56, 16, v56
	v_mov_b32_e32 v57, 0x7fc0
	v_cmp_o_f32_e32 vcc, v55, v55
	s_nop 1
	v_cndmask_b32_e32 v66, v57, v56, vcc
	v_and_b32_e32 v63, 0xffff, v66
.LBB93_86:
	s_or_b64 exec, exec, s[10:11]
	v_cmp_gt_u32_e32 vcc, 60, v20
	v_add_u32_e32 v56, 4, v17
	s_waitcnt lgkmcnt(0)
	v_cndmask_b32_e64 v55, 0, 1, vcc
	v_lshlrev_b32_e32 v55, 2, v55
	v_add_lshl_u32 v55, v55, v17, 2
	ds_bpermute_b32 v57, v55, v63
	;; [unrolled: 26-line block ×4, first 2 shown]
	v_cmp_le_u32_e32 vcc, v60, v21
	s_and_saveexec_b64 s[10:11], vcc
	s_cbranch_execz .LBB93_92
; %bb.91:
	v_lshlrev_b32_e32 v62, 16, v63
	s_waitcnt lgkmcnt(0)
	v_lshlrev_b32_e32 v61, 16, v61
	v_mul_f32_e32 v61, v61, v62
	v_bfe_u32 v62, v61, 16, 1
	s_movk_i32 s3, 0x7fff
	v_add3_u32 v62, v61, v62, s3
	v_lshrrev_b32_e32 v62, 16, v62
	v_mov_b32_e32 v63, 0x7fc0
	v_cmp_o_f32_e32 vcc, v61, v61
	s_nop 1
	v_cndmask_b32_e32 v66, v63, v62, vcc
	v_and_b32_e32 v63, 0xffff, v66
.LBB93_92:
	s_or_b64 exec, exec, s[10:11]
	v_cmp_gt_u32_e32 vcc, 32, v20
	v_add_u32_e32 v62, 32, v17
	s_nop 0
	v_cndmask_b32_e64 v20, 0, 1, vcc
	v_lshlrev_b32_e32 v20, 5, v20
	s_waitcnt lgkmcnt(0)
	v_add_lshl_u32 v61, v20, v17, 2
	ds_bpermute_b32 v20, v61, v63
	v_cmp_le_u32_e32 vcc, v62, v21
	s_and_saveexec_b64 s[10:11], vcc
	s_cbranch_execz .LBB93_94
; %bb.93:
	v_lshlrev_b32_e32 v17, 16, v63
	s_waitcnt lgkmcnt(0)
	v_lshlrev_b32_e32 v20, 16, v20
	v_mul_f32_e32 v17, v20, v17
	v_bfe_u32 v20, v17, 16, 1
	s_movk_i32 s3, 0x7fff
	v_add3_u32 v20, v17, v20, s3
	v_lshrrev_b32_e32 v20, 16, v20
	v_mov_b32_e32 v21, 0x7fc0
	v_cmp_o_f32_e32 vcc, v17, v17
	s_nop 1
	v_cndmask_b32_e32 v66, v21, v20, vcc
.LBB93_94:
	s_or_b64 exec, exec, s[10:11]
	v_mov_b32_e32 v17, 0
	s_movk_i32 s3, 0x7fff
	v_mov_b32_e32 v64, 2
	v_mov_b32_e32 v65, 0x7fc0
	s_branch .LBB93_96
.LBB93_95:                              ;   in Loop: Header=BB93_96 Depth=1
	s_or_b64 exec, exec, s[10:11]
	v_lshlrev_b32_e32 v20, 16, v63
	v_lshlrev_b32_e32 v21, 16, v66
	v_mul_f32_e32 v20, v21, v20
	v_bfe_u32 v21, v20, 16, 1
	v_add3_u32 v21, v20, v21, s3
	v_lshrrev_b32_e32 v21, 16, v21
	v_cmp_o_f32_e32 vcc, v20, v20
	v_subrev_u32_e32 v16, 64, v16
	s_nop 0
	v_cndmask_b32_e32 v66, v65, v21, vcc
.LBB93_96:                              ; =>This Loop Header: Depth=1
                                        ;     Child Loop BB93_99 Depth 2
	v_cmp_ne_u16_sdwa s[10:11], v50, v64 src0_sel:BYTE_0 src1_sel:DWORD
	v_mov_b32_e32 v63, v66
	s_waitcnt lgkmcnt(0)
	v_cndmask_b32_e64 v20, 0, 1, s[10:11]
	;;#ASMSTART
	;;#ASMEND
	s_nop 0
	v_cmp_ne_u32_e32 vcc, 0, v20
	s_cmp_lg_u64 vcc, exec
	s_cbranch_scc1 .LBB93_113
; %bb.97:                               ;   in Loop: Header=BB93_96 Depth=1
	v_lshl_add_u64 v[20:21], v[16:17], 2, s[16:17]
	global_load_dword v66, v[20:21], off sc1
	s_waitcnt vmcnt(0)
	v_lshrrev_b32_e32 v50, 16, v66
	v_cmp_eq_u16_sdwa s[18:19], v50, v17 src0_sel:BYTE_0 src1_sel:DWORD
	s_and_saveexec_b64 s[10:11], s[18:19]
	s_cbranch_execz .LBB93_101
; %bb.98:                               ;   in Loop: Header=BB93_96 Depth=1
	s_mov_b64 s[18:19], 0
.LBB93_99:                              ;   Parent Loop BB93_96 Depth=1
                                        ; =>  This Inner Loop Header: Depth=2
	global_load_dword v66, v[20:21], off sc1
	s_waitcnt vmcnt(0)
	v_lshrrev_b32_e32 v50, 16, v66
	v_cmp_ne_u16_sdwa s[22:23], v50, v17 src0_sel:BYTE_0 src1_sel:DWORD
	s_or_b64 s[18:19], s[22:23], s[18:19]
	s_andn2_b64 exec, exec, s[18:19]
	s_cbranch_execnz .LBB93_99
; %bb.100:                              ;   in Loop: Header=BB93_96 Depth=1
	s_or_b64 exec, exec, s[18:19]
.LBB93_101:                             ;   in Loop: Header=BB93_96 Depth=1
	s_or_b64 exec, exec, s[10:11]
	v_cmp_eq_u16_sdwa s[10:11], v50, v64 src0_sel:BYTE_0 src1_sel:DWORD
	v_and_b32_e32 v21, 0xffff, v66
	ds_bpermute_b32 v67, v51, v21
	v_and_b32_e32 v20, s11, v19
	v_or_b32_e32 v20, 0x80000000, v20
	v_and_b32_e32 v68, s10, v18
	v_ffbl_b32_e32 v20, v20
	v_add_u32_e32 v20, 32, v20
	v_ffbl_b32_e32 v68, v68
	v_min_u32_e32 v20, v68, v20
	v_cmp_le_u32_e32 vcc, v52, v20
	s_and_saveexec_b64 s[10:11], vcc
	s_cbranch_execz .LBB93_103
; %bb.102:                              ;   in Loop: Header=BB93_96 Depth=1
	v_lshlrev_b32_e32 v21, 16, v21
	s_waitcnt lgkmcnt(0)
	v_lshlrev_b32_e32 v66, 16, v67
	v_mul_f32_e32 v21, v66, v21
	v_bfe_u32 v66, v21, 16, 1
	v_add3_u32 v66, v21, v66, s3
	v_lshrrev_b32_e32 v66, 16, v66
	v_cmp_o_f32_e32 vcc, v21, v21
	s_nop 1
	v_cndmask_b32_e32 v66, v65, v66, vcc
	v_and_b32_e32 v21, 0xffff, v66
.LBB93_103:                             ;   in Loop: Header=BB93_96 Depth=1
	s_or_b64 exec, exec, s[10:11]
	s_waitcnt lgkmcnt(0)
	ds_bpermute_b32 v67, v53, v21
	v_cmp_le_u32_e32 vcc, v54, v20
	s_and_saveexec_b64 s[10:11], vcc
	s_cbranch_execz .LBB93_105
; %bb.104:                              ;   in Loop: Header=BB93_96 Depth=1
	v_lshlrev_b32_e32 v21, 16, v21
	s_waitcnt lgkmcnt(0)
	v_lshlrev_b32_e32 v66, 16, v67
	v_mul_f32_e32 v21, v66, v21
	v_bfe_u32 v66, v21, 16, 1
	v_add3_u32 v66, v21, v66, s3
	v_lshrrev_b32_e32 v66, 16, v66
	v_cmp_o_f32_e32 vcc, v21, v21
	s_nop 1
	v_cndmask_b32_e32 v66, v65, v66, vcc
	v_and_b32_e32 v21, 0xffff, v66
.LBB93_105:                             ;   in Loop: Header=BB93_96 Depth=1
	s_or_b64 exec, exec, s[10:11]
	s_waitcnt lgkmcnt(0)
	ds_bpermute_b32 v67, v55, v21
	;; [unrolled: 19-line block ×5, first 2 shown]
	v_cmp_le_u32_e32 vcc, v62, v20
	s_and_saveexec_b64 s[10:11], vcc
	s_cbranch_execz .LBB93_95
; %bb.112:                              ;   in Loop: Header=BB93_96 Depth=1
	v_lshlrev_b32_e32 v20, 16, v21
	s_waitcnt lgkmcnt(0)
	v_lshlrev_b32_e32 v21, 16, v67
	v_mul_f32_e32 v20, v21, v20
	v_bfe_u32 v21, v20, 16, 1
	v_add3_u32 v21, v20, v21, s3
	v_lshrrev_b32_e32 v21, 16, v21
	v_cmp_o_f32_e32 vcc, v20, v20
	s_nop 1
	v_cndmask_b32_e32 v66, v65, v21, vcc
	s_branch .LBB93_95
.LBB93_113:                             ;   in Loop: Header=BB93_96 Depth=1
                                        ; implicit-def: $vgpr66
                                        ; implicit-def: $vgpr50
	s_cbranch_execz .LBB93_96
; %bb.114:
	s_and_saveexec_b64 s[10:11], s[4:5]
	s_cbranch_execz .LBB93_116
; %bb.115:
	v_lshlrev_b32_e32 v16, 16, v49
	v_lshlrev_b32_e32 v17, 16, v63
	v_mul_f32_e32 v16, v17, v16
	v_bfe_u32 v17, v16, 16, 1
	s_movk_i32 s3, 0x7fff
	v_add3_u32 v17, v16, v17, s3
	s_add_i32 s2, s2, 64
	s_mov_b32 s3, 0
	s_lshl_b64 s[2:3], s[2:3], 2
	s_mov_b32 s18, 0x20000
	s_add_u32 s2, s16, s2
	v_or_b32_sdwa v17, v17, s18 dst_sel:DWORD dst_unused:UNUSED_PAD src0_sel:WORD_1 src1_sel:DWORD
	v_mov_b32_e32 v19, 0x27fc0
	v_cmp_o_f32_e32 vcc, v16, v16
	s_addc_u32 s3, s17, s3
	v_mov_b32_e32 v18, 0
	v_cndmask_b32_e32 v16, v19, v17, vcc
	global_store_dword v18, v16, s[2:3] sc1
.LBB93_116:
	s_or_b64 exec, exec, s[10:11]
	v_cmp_eq_u32_e32 vcc, 0, v0
	s_and_b64 exec, exec, vcc
	s_cbranch_execz .LBB93_118
; %bb.117:
	v_mov_b32_e32 v16, 0
	ds_write_b16 v16, v63 offset:6
.LBB93_118:
	s_or_b64 exec, exec, s[8:9]
	v_mov_b32_e32 v16, 0
	s_waitcnt lgkmcnt(0)
	s_barrier
	ds_read_u16 v16, v16 offset:6
	v_cmp_ne_u32_e32 vcc, 0, v0
	s_and_saveexec_b64 s[2:3], vcc
; %bb.119:
	v_cndmask_b32_e64 v17, v48, v47, s[4:5]
	v_lshlrev_b32_e32 v17, 16, v17
	v_mul_f32_e32 v17, v46, v17
	v_bfe_u32 v18, v17, 16, 1
	s_movk_i32 s4, 0x7fff
	v_add3_u32 v18, v17, v18, s4
	v_and_b32_e32 v18, 0xffff0000, v18
	v_mov_b32_e32 v19, 0x7fc00000
	v_cmp_o_f32_e32 vcc, v17, v17
	s_nop 1
	v_cndmask_b32_e32 v46, v19, v18, vcc
; %bb.120:
	s_or_b64 exec, exec, s[2:3]
	s_waitcnt lgkmcnt(0)
	v_lshlrev_b32_e32 v16, 16, v16
	v_mul_f32_e32 v16, v46, v16
	v_bfe_u32 v17, v16, 16, 1
	s_movk_i32 s2, 0x7fff
	v_add3_u32 v17, v16, v17, s2
	v_lshrrev_b32_e32 v17, 16, v17
	v_mov_b32_e32 v47, 0x7fc0
	v_cmp_o_f32_e32 vcc, v16, v16
	s_nop 1
	v_cndmask_b32_e32 v16, v47, v17, vcc
	v_lshlrev_b32_e32 v17, 16, v16
	v_mul_f32_e32 v17, v23, v17
	v_bfe_u32 v18, v17, 16, 1
	v_add3_u32 v18, v17, v18, s2
	v_lshrrev_b32_e32 v18, 16, v18
	v_cmp_o_f32_e32 vcc, v17, v17
	s_nop 1
	v_cndmask_b32_e32 v17, v47, v18, vcc
	v_lshlrev_b32_e32 v18, 16, v17
	v_mul_f32_e32 v18, v24, v18
	v_bfe_u32 v19, v18, 16, 1
	v_add3_u32 v19, v18, v19, s2
	v_lshrrev_b32_e32 v19, 16, v19
	;; [unrolled: 8-line block ×23, first 2 shown]
	v_cmp_o_f32_e32 vcc, v39, v39
	s_nop 1
	v_cndmask_b32_e32 v39, v47, v40, vcc
	s_load_dwordx4 s[8:11], s[0:1], 0x30
	s_branch .LBB93_151
.LBB93_121:
                                        ; implicit-def: $vgpr16
                                        ; implicit-def: $vgpr17
                                        ; implicit-def: $vgpr18
                                        ; implicit-def: $vgpr19
                                        ; implicit-def: $vgpr20
                                        ; implicit-def: $vgpr21
                                        ; implicit-def: $vgpr23
                                        ; implicit-def: $vgpr24
                                        ; implicit-def: $vgpr25
                                        ; implicit-def: $vgpr26
                                        ; implicit-def: $vgpr27
                                        ; implicit-def: $vgpr46
                                        ; implicit-def: $vgpr28
                                        ; implicit-def: $vgpr34
                                        ; implicit-def: $vgpr29
                                        ; implicit-def: $vgpr35
                                        ; implicit-def: $vgpr30
                                        ; implicit-def: $vgpr36
                                        ; implicit-def: $vgpr31
                                        ; implicit-def: $vgpr37
                                        ; implicit-def: $vgpr32
                                        ; implicit-def: $vgpr38
                                        ; implicit-def: $vgpr33
                                        ; implicit-def: $vgpr39
	s_load_dwordx4 s[8:11], s[0:1], 0x30
	s_cbranch_execz .LBB93_151
; %bb.122:
	s_load_dword s4, s[0:1], 0x40
	v_cmp_eq_u32_e32 vcc, 0, v0
	v_cmp_ne_u32_e64 s[2:3], 0, v0
	v_mov_b32_e32 v16, v10
	s_waitcnt lgkmcnt(0)
	s_bitcmp1_b32 s4, 0
	s_cselect_b64 s[4:5], -1, 0
	s_and_b64 s[4:5], vcc, s[4:5]
	s_and_saveexec_b64 s[18:19], s[4:5]
	s_cbranch_execz .LBB93_124
; %bb.123:
	v_mov_b32_e32 v16, 0
	global_load_ushort v16, v16, s[8:9]
	v_lshlrev_b32_e32 v17, 16, v10
	s_movk_i32 s4, 0x7fff
	v_mov_b32_e32 v18, 0x7fc0
	s_waitcnt vmcnt(0)
	v_lshlrev_b32_e32 v16, 16, v16
	v_mul_f32_e32 v16, v16, v17
	v_bfe_u32 v17, v16, 16, 1
	v_add3_u32 v17, v16, v17, s4
	v_lshrrev_b32_e32 v17, 16, v17
	v_cmp_o_f32_e64 s[4:5], v16, v16
	s_nop 1
	v_cndmask_b32_e64 v16, v18, v17, s[4:5]
.LBB93_124:
	s_or_b64 exec, exec, s[18:19]
	v_and_b32_e32 v17, 0xffff0000, v10
	v_lshlrev_b32_e32 v21, 16, v16
	v_mul_f32_e32 v19, v21, v17
	v_bfe_u32 v10, v19, 16, 1
	s_movk_i32 s18, 0x7fff
	v_add3_u32 v20, v19, v10, s18
	v_and_b32_e32 v10, 0xffff0000, v20
	v_mov_b32_e32 v24, 0x7fc00000
	v_cmp_o_f32_e64 s[4:5], v19, v19
	v_mov_b32_e32 v26, 16
	v_lshlrev_b32_sdwa v18, v26, v11 dst_sel:DWORD dst_unused:UNUSED_PAD src0_sel:DWORD src1_sel:WORD_0
	v_cndmask_b32_e64 v10, v24, v10, s[4:5]
	v_mul_f32_e32 v10, v10, v18
	v_bfe_u32 v23, v10, 16, 1
	v_add3_u32 v23, v10, v23, s18
	v_and_b32_e32 v23, 0xffff0000, v23
	v_cmp_o_f32_e64 s[4:5], v10, v10
	v_lshlrev_b32_sdwa v10, v26, v11 dst_sel:DWORD dst_unused:UNUSED_PAD src0_sel:DWORD src1_sel:WORD_1
	v_mbcnt_hi_u32_b32 v15, -1, v15
	v_cndmask_b32_e64 v23, v24, v23, s[4:5]
	v_mul_f32_e32 v11, v23, v10
	v_bfe_u32 v23, v11, 16, 1
	v_add3_u32 v23, v11, v23, s18
	v_and_b32_e32 v23, 0xffff0000, v23
	v_cmp_o_f32_e64 s[4:5], v11, v11
	v_lshlrev_b32_sdwa v11, v26, v12 dst_sel:DWORD dst_unused:UNUSED_PAD src0_sel:DWORD src1_sel:WORD_0
	v_lshlrev_b32_sdwa v12, v26, v12 dst_sel:DWORD dst_unused:UNUSED_PAD src0_sel:DWORD src1_sel:WORD_1
	v_cndmask_b32_e64 v23, v24, v23, s[4:5]
	v_mul_f32_e32 v23, v23, v11
	v_bfe_u32 v25, v23, 16, 1
	v_add3_u32 v25, v23, v25, s18
	v_and_b32_e32 v25, 0xffff0000, v25
	v_cmp_o_f32_e64 s[4:5], v23, v23
	s_nop 1
	v_cndmask_b32_e64 v23, v24, v25, s[4:5]
	v_mul_f32_e32 v23, v23, v12
	v_bfe_u32 v25, v23, 16, 1
	v_add3_u32 v25, v23, v25, s18
	v_and_b32_e32 v25, 0xffff0000, v25
	v_cmp_o_f32_e64 s[4:5], v23, v23
	v_lshlrev_b32_sdwa v23, v26, v13 dst_sel:DWORD dst_unused:UNUSED_PAD src0_sel:DWORD src1_sel:WORD_0
	v_lshlrev_b32_sdwa v13, v26, v13 dst_sel:DWORD dst_unused:UNUSED_PAD src0_sel:DWORD src1_sel:WORD_1
	v_cndmask_b32_e64 v25, v24, v25, s[4:5]
	v_mul_f32_e32 v25, v25, v23
	v_bfe_u32 v27, v25, 16, 1
	v_add3_u32 v27, v25, v27, s18
	v_and_b32_e32 v27, 0xffff0000, v27
	v_cmp_o_f32_e64 s[4:5], v25, v25
	s_nop 1
	;; [unrolled: 15-line block ×9, first 2 shown]
	v_cndmask_b32_e64 v33, v24, v34, s[4:5]
	v_mul_f32_e32 v33, v33, v4
	v_bfe_u32 v34, v33, 16, 1
	v_add3_u32 v34, v33, v34, s18
	v_and_b32_e32 v34, 0xffff0000, v34
	v_cmp_o_f32_e64 s[4:5], v33, v33
	v_lshlrev_b32_sdwa v33, v26, v5 dst_sel:DWORD dst_unused:UNUSED_PAD src0_sel:DWORD src1_sel:WORD_0
	v_lshlrev_b32_sdwa v5, v26, v5 dst_sel:DWORD dst_unused:UNUSED_PAD src0_sel:DWORD src1_sel:WORD_1
	v_cndmask_b32_e64 v34, v24, v34, s[4:5]
	v_mul_f32_e32 v34, v34, v33
	v_bfe_u32 v35, v34, 16, 1
	v_add3_u32 v35, v34, v35, s18
	v_and_b32_e32 v35, 0xffff0000, v35
	v_cmp_o_f32_e64 s[4:5], v34, v34
	v_and_b32_e32 v34, 15, v15
	s_nop 0
	v_cndmask_b32_e64 v24, v24, v35, s[4:5]
	v_mul_f32_e32 v24, v24, v5
	v_bfe_u32 v26, v24, 16, 1
	v_add3_u32 v26, v24, v26, s18
	v_lshrrev_b32_e32 v26, 16, v26
	v_mov_b32_e32 v35, 0x7fc0
	v_cmp_o_f32_e64 s[4:5], v24, v24
	s_nop 1
	v_cndmask_b32_e64 v24, v35, v26, s[4:5]
	v_and_b32_e32 v26, 0xffff, v24
	v_cmp_ne_u32_e64 s[4:5], 0, v34
	s_nop 0
	v_mov_b32_dpp v36, v26 row_shr:1 row_mask:0xf bank_mask:0xf
	s_and_saveexec_b64 s[8:9], s[4:5]
; %bb.125:
	v_lshlrev_b32_e32 v24, 16, v36
	v_lshlrev_b32_e32 v26, 16, v26
	v_mul_f32_e32 v24, v26, v24
	v_bfe_u32 v26, v24, 16, 1
	v_add3_u32 v26, v24, v26, s18
	v_lshrrev_b32_e32 v26, 16, v26
	v_cmp_o_f32_e64 s[4:5], v24, v24
	s_nop 1
	v_cndmask_b32_e64 v24, v35, v26, s[4:5]
	v_and_b32_e32 v26, 0xffff, v24
; %bb.126:
	s_or_b64 exec, exec, s[8:9]
	s_nop 0
	v_mov_b32_dpp v35, v26 row_shr:2 row_mask:0xf bank_mask:0xf
	v_cmp_lt_u32_e64 s[4:5], 1, v34
	s_and_saveexec_b64 s[8:9], s[4:5]
; %bb.127:
	v_lshlrev_b32_e32 v24, 16, v26
	v_lshlrev_b32_e32 v26, 16, v35
	v_mul_f32_e32 v24, v26, v24
	v_bfe_u32 v26, v24, 16, 1
	s_movk_i32 s4, 0x7fff
	v_add3_u32 v26, v24, v26, s4
	v_lshrrev_b32_e32 v26, 16, v26
	v_mov_b32_e32 v35, 0x7fc0
	v_cmp_o_f32_e64 s[4:5], v24, v24
	s_nop 1
	v_cndmask_b32_e64 v24, v35, v26, s[4:5]
	v_and_b32_e32 v26, 0xffff, v24
; %bb.128:
	s_or_b64 exec, exec, s[8:9]
	s_nop 0
	v_mov_b32_dpp v35, v26 row_shr:4 row_mask:0xf bank_mask:0xf
	v_cmp_lt_u32_e64 s[4:5], 3, v34
	s_and_saveexec_b64 s[8:9], s[4:5]
; %bb.129:
	v_lshlrev_b32_e32 v24, 16, v26
	v_lshlrev_b32_e32 v26, 16, v35
	v_mul_f32_e32 v24, v26, v24
	v_bfe_u32 v26, v24, 16, 1
	s_movk_i32 s4, 0x7fff
	v_add3_u32 v26, v24, v26, s4
	v_lshrrev_b32_e32 v26, 16, v26
	v_mov_b32_e32 v35, 0x7fc0
	;; [unrolled: 19-line block ×3, first 2 shown]
	v_cmp_o_f32_e64 s[4:5], v24, v24
	s_nop 1
	v_cndmask_b32_e64 v24, v34, v26, s[4:5]
	v_and_b32_e32 v26, 0xffff, v24
; %bb.132:
	s_or_b64 exec, exec, s[8:9]
	v_and_b32_e32 v35, 16, v15
	v_mov_b32_dpp v34, v26 row_bcast:15 row_mask:0xf bank_mask:0xf
	v_cmp_ne_u32_e64 s[4:5], 0, v35
	s_and_saveexec_b64 s[8:9], s[4:5]
; %bb.133:
	v_lshlrev_b32_e32 v24, 16, v26
	v_lshlrev_b32_e32 v26, 16, v34
	v_mul_f32_e32 v24, v26, v24
	v_bfe_u32 v26, v24, 16, 1
	s_movk_i32 s4, 0x7fff
	v_add3_u32 v26, v24, v26, s4
	v_lshrrev_b32_e32 v26, 16, v26
	v_mov_b32_e32 v34, 0x7fc0
	v_cmp_o_f32_e64 s[4:5], v24, v24
	s_nop 1
	v_cndmask_b32_e64 v24, v34, v26, s[4:5]
	v_and_b32_e32 v26, 0xffff, v24
; %bb.134:
	s_or_b64 exec, exec, s[8:9]
	s_nop 0
	v_mov_b32_dpp v34, v26 row_bcast:31 row_mask:0xf bank_mask:0xf
	v_cmp_lt_u32_e64 s[4:5], 31, v15
	s_and_saveexec_b64 s[8:9], s[4:5]
; %bb.135:
	v_lshlrev_b32_e32 v24, 16, v26
	v_lshlrev_b32_e32 v26, 16, v34
	v_mul_f32_e32 v24, v26, v24
	v_bfe_u32 v26, v24, 16, 1
	s_movk_i32 s4, 0x7fff
	v_add3_u32 v26, v24, v26, s4
	v_lshrrev_b32_e32 v26, 16, v26
	v_mov_b32_e32 v34, 0x7fc0
	v_cmp_o_f32_e64 s[4:5], v24, v24
	s_nop 1
	v_cndmask_b32_e64 v24, v34, v26, s[4:5]
; %bb.136:
	s_or_b64 exec, exec, s[8:9]
	v_or_b32_e32 v34, 63, v0
	v_lshrrev_b32_e32 v26, 6, v0
	v_cmp_eq_u32_e64 s[4:5], v34, v0
	s_and_saveexec_b64 s[8:9], s[4:5]
	s_cbranch_execz .LBB93_138
; %bb.137:
	v_lshlrev_b32_e32 v34, 1, v26
	ds_write_b16 v34, v24
.LBB93_138:
	s_or_b64 exec, exec, s[8:9]
	v_cmp_gt_u32_e64 s[4:5], 4, v0
	s_waitcnt lgkmcnt(0)
	s_barrier
	s_and_saveexec_b64 s[8:9], s[4:5]
	s_cbranch_execz .LBB93_144
; %bb.139:
	ds_read_u16 v34, v14
	v_and_b32_e32 v35, 3, v15
	v_cmp_ne_u32_e64 s[4:5], 0, v35
	s_waitcnt lgkmcnt(0)
	v_and_b32_e32 v36, 0xffff, v34
	s_nop 1
	v_mov_b32_dpp v37, v36 row_shr:1 row_mask:0xf bank_mask:0xf
	s_and_saveexec_b64 s[18:19], s[4:5]
; %bb.140:
	v_lshlrev_b32_e32 v34, 16, v36
	v_lshlrev_b32_e32 v36, 16, v37
	v_mul_f32_e32 v34, v36, v34
	v_bfe_u32 v36, v34, 16, 1
	s_movk_i32 s4, 0x7fff
	v_add3_u32 v36, v34, v36, s4
	v_lshrrev_b32_e32 v36, 16, v36
	v_mov_b32_e32 v37, 0x7fc0
	v_cmp_o_f32_e64 s[4:5], v34, v34
	s_nop 1
	v_cndmask_b32_e64 v34, v37, v36, s[4:5]
	v_and_b32_e32 v36, 0xffff, v34
; %bb.141:
	s_or_b64 exec, exec, s[18:19]
	s_nop 0
	v_mov_b32_dpp v37, v36 row_shr:2 row_mask:0xf bank_mask:0xf
	v_cmp_lt_u32_e64 s[4:5], 1, v35
	s_and_saveexec_b64 s[18:19], s[4:5]
; %bb.142:
	v_lshlrev_b32_e32 v34, 16, v36
	v_lshlrev_b32_e32 v35, 16, v37
	v_mul_f32_e32 v34, v35, v34
	v_bfe_u32 v35, v34, 16, 1
	s_movk_i32 s4, 0x7fff
	v_add3_u32 v35, v34, v35, s4
	v_lshrrev_b32_e32 v35, 16, v35
	v_mov_b32_e32 v36, 0x7fc0
	v_cmp_o_f32_e64 s[4:5], v34, v34
	s_nop 1
	v_cndmask_b32_e64 v34, v36, v35, s[4:5]
; %bb.143:
	s_or_b64 exec, exec, s[18:19]
	ds_write_b16 v14, v34
.LBB93_144:
	s_or_b64 exec, exec, s[8:9]
	v_cmp_lt_u32_e64 s[4:5], 63, v0
	s_waitcnt lgkmcnt(0)
	s_barrier
	s_waitcnt lgkmcnt(0)
                                        ; implicit-def: $vgpr34
	s_and_saveexec_b64 s[8:9], s[4:5]
	s_cbranch_execz .LBB93_146
; %bb.145:
	v_lshl_add_u32 v26, v26, 1, -2
	ds_read_u16 v34, v26
	v_lshlrev_b32_e32 v24, 16, v24
	s_movk_i32 s4, 0x7fff
	v_mov_b32_e32 v26, 0x7fc0
	s_waitcnt lgkmcnt(0)
	v_lshlrev_b32_e32 v35, 16, v34
	v_mul_f32_e32 v24, v35, v24
	v_bfe_u32 v35, v24, 16, 1
	v_add3_u32 v35, v24, v35, s4
	v_lshrrev_b32_e32 v35, 16, v35
	v_cmp_o_f32_e64 s[4:5], v24, v24
	s_nop 1
	v_cndmask_b32_e64 v24, v26, v35, s[4:5]
.LBB93_146:
	s_or_b64 exec, exec, s[8:9]
	v_add_u32_e32 v26, -1, v15
	v_and_b32_e32 v35, 64, v15
	v_cmp_lt_i32_e64 s[4:5], v26, v35
	v_and_b32_e32 v24, 0xffff, v24
	s_nop 0
	v_cndmask_b32_e64 v26, v26, v15, s[4:5]
	v_lshlrev_b32_e32 v26, 2, v26
	ds_bpermute_b32 v24, v26, v24
	s_and_saveexec_b64 s[4:5], s[2:3]
	s_cbranch_execz .LBB93_148
; %bb.147:
	v_cmp_eq_u32_e64 s[2:3], 0, v15
	s_movk_i32 s8, 0x7fff
	v_mov_b32_e32 v19, 0x7fc0
	s_waitcnt lgkmcnt(0)
	v_cndmask_b32_e64 v15, v24, v34, s[2:3]
	v_lshlrev_b32_e32 v15, 16, v15
	v_mul_f32_e32 v15, v21, v15
	v_bfe_u32 v16, v15, 16, 1
	v_add3_u32 v16, v15, v16, s8
	v_lshrrev_b32_e32 v16, 16, v16
	v_cmp_o_f32_e64 s[2:3], v15, v15
	s_nop 1
	v_cndmask_b32_e64 v16, v19, v16, s[2:3]
	v_lshlrev_b32_e32 v15, 16, v16
	v_mul_f32_e32 v19, v17, v15
	v_bfe_u32 v15, v19, 16, 1
	v_add3_u32 v20, v19, v15, s8
.LBB93_148:
	s_or_b64 exec, exec, s[4:5]
	v_lshrrev_b32_e32 v17, 16, v20
	v_mov_b32_e32 v15, 0x7fc0
	v_cmp_o_f32_e64 s[2:3], v19, v19
	s_movk_i32 s4, 0x7fff
	s_nop 0
	v_cndmask_b32_e64 v17, v15, v17, s[2:3]
	v_lshlrev_b32_e32 v19, 16, v17
	v_mul_f32_e32 v18, v18, v19
	v_bfe_u32 v19, v18, 16, 1
	v_add3_u32 v19, v18, v19, s4
	v_lshrrev_b32_e32 v19, 16, v19
	v_cmp_o_f32_e64 s[2:3], v18, v18
	s_nop 1
	v_cndmask_b32_e64 v18, v15, v19, s[2:3]
	v_lshlrev_b32_e32 v19, 16, v18
	v_mul_f32_e32 v10, v10, v19
	v_bfe_u32 v19, v10, 16, 1
	v_add3_u32 v19, v10, v19, s4
	v_lshrrev_b32_e32 v19, 16, v19
	v_cmp_o_f32_e64 s[2:3], v10, v10
	;; [unrolled: 8-line block ×6, first 2 shown]
	s_waitcnt lgkmcnt(0)
	s_nop 0
	v_cndmask_b32_e64 v24, v15, v11, s[2:3]
	v_lshlrev_b32_e32 v10, 16, v24
	v_mul_f32_e32 v10, v25, v10
	v_bfe_u32 v11, v10, 16, 1
	v_add3_u32 v11, v10, v11, s4
	v_lshrrev_b32_e32 v11, 16, v11
	v_cmp_o_f32_e64 s[2:3], v10, v10
	s_nop 1
	v_cndmask_b32_e64 v25, v15, v11, s[2:3]
	v_lshlrev_b32_e32 v10, 16, v25
	v_mul_f32_e32 v6, v6, v10
	v_bfe_u32 v10, v6, 16, 1
	v_add3_u32 v10, v6, v10, s4
	v_lshrrev_b32_e32 v10, 16, v10
	v_cmp_o_f32_e64 s[2:3], v6, v6
	;; [unrolled: 8-line block ×16, first 2 shown]
	s_and_saveexec_b64 s[4:5], vcc
	s_cbranch_execz .LBB93_150
; %bb.149:
	v_mov_b32_e32 v3, 0
	ds_read_u16 v4, v3 offset:6
	s_waitcnt lgkmcnt(0)
	v_or_b32_e32 v4, 0x20000, v4
	global_store_dword v3, v4, s[16:17] offset:256 sc1
.LBB93_150:
	s_or_b64 exec, exec, s[4:5]
	v_cndmask_b32_e64 v39, v15, v2, s[2:3]
.LBB93_151:
	s_add_u32 s2, s6, s14
	s_addc_u32 s3, s7, s15
	s_mov_b64 s[4:5], -1
	s_and_b64 vcc, exec, s[12:13]
	s_waitcnt lgkmcnt(0)
	s_barrier
	s_cbranch_vccz .LBB93_153
; %bb.152:
	s_mov_b32 s4, 0x5040100
	v_perm_b32 v5, v24, v23, s4
	v_perm_b32 v4, v21, v20, s4
	;; [unrolled: 1-line block ×4, first 2 shown]
	ds_write_b128 v1, v[2:5]
	v_perm_b32 v5, v35, v29, s4
	v_perm_b32 v4, v34, v28, s4
	v_perm_b32 v3, v46, v27, s4
	v_perm_b32 v2, v26, v25, s4
	ds_write_b128 v1, v[2:5] offset:16
	v_perm_b32 v5, v39, v33, s4
	v_perm_b32 v4, v38, v32, s4
	;; [unrolled: 1-line block ×4, first 2 shown]
	v_mov_b32_e32 v15, 0
	ds_write_b128 v1, v[2:5] offset:32
	s_waitcnt lgkmcnt(0)
	s_barrier
	ds_read_u16 v4, v14
	ds_read_u16 v5, v14 offset:512
	ds_read_u16 v6, v14 offset:1024
	;; [unrolled: 1-line block ×23, first 2 shown]
	v_lshl_add_u64 v[2:3], s[2:3], 0, v[14:15]
	s_movk_i32 s4, 0x1000
	s_waitcnt lgkmcnt(14)
	global_store_short v14, v4, s[2:3]
	global_store_short v14, v5, s[2:3] offset:512
	global_store_short v14, v6, s[2:3] offset:1024
	;; [unrolled: 1-line block ×7, first 2 shown]
	v_add_co_u32_e32 v4, vcc, s4, v2
	s_mov_b64 s[4:5], 0
	s_nop 0
	v_addc_co_u32_e32 v5, vcc, 0, v3, vcc
	v_add_co_u32_e32 v2, vcc, 0x2000, v2
	global_store_short v[4:5], v12, off
	global_store_short v[4:5], v13, off offset:512
	s_waitcnt lgkmcnt(13)
	global_store_short v[4:5], v40, off offset:1024
	s_waitcnt lgkmcnt(12)
	;; [unrolled: 2-line block ×6, first 2 shown]
	global_store_short v[4:5], v45, off offset:3584
	v_addc_co_u32_e32 v3, vcc, 0, v3, vcc
	s_waitcnt lgkmcnt(7)
	global_store_short v[2:3], v47, off
	s_waitcnt lgkmcnt(6)
	global_store_short v[2:3], v48, off offset:512
	s_waitcnt lgkmcnt(5)
	global_store_short v[2:3], v49, off offset:1024
	s_waitcnt lgkmcnt(4)
	global_store_short v[2:3], v50, off offset:1536
	s_waitcnt lgkmcnt(3)
	global_store_short v[2:3], v51, off offset:2048
	s_waitcnt lgkmcnt(2)
	global_store_short v[2:3], v52, off offset:2560
	s_waitcnt lgkmcnt(1)
	global_store_short v[2:3], v53, off offset:3072
	s_waitcnt lgkmcnt(0)
	global_store_short v[2:3], v54, off offset:3584
.LBB93_153:
	s_andn2_b64 vcc, exec, s[4:5]
	s_cbranch_vccnz .LBB93_210
; %bb.154:
	s_mov_b32 s4, 0x5040100
	v_perm_b32 v5, v24, v23, s4
	v_perm_b32 v4, v21, v20, s4
	;; [unrolled: 1-line block ×4, first 2 shown]
	ds_write_b128 v1, v[2:5]
	v_perm_b32 v5, v35, v29, s4
	v_perm_b32 v4, v34, v28, s4
	;; [unrolled: 1-line block ×4, first 2 shown]
	ds_write_b128 v1, v[2:5] offset:16
	v_perm_b32 v5, v39, v33, s4
	v_perm_b32 v4, v38, v32, s4
	;; [unrolled: 1-line block ×4, first 2 shown]
	ds_write_b128 v1, v[2:5] offset:32
	s_waitcnt lgkmcnt(0)
	s_barrier
	ds_read_u16 v5, v14
	ds_read_u16 v4, v14 offset:512
	ds_read_u16 v7, v14 offset:1024
	ds_read_u16 v8, v14 offset:1536
	ds_read_u16 v6, v14 offset:2048
	ds_read_u16 v9, v14 offset:2560
	ds_read_u16 v19, v14 offset:3072
	ds_read_u16 v17, v14 offset:3584
	ds_read_u16 v18, v14 offset:4096
	ds_read_u16 v26, v14 offset:4608
	ds_read_u16 v23, v14 offset:5120
	ds_read_u16 v21, v14 offset:5632
	ds_read_u16 v20, v14 offset:6144
	ds_read_u16 v13, v14 offset:6656
	ds_read_u16 v16, v14 offset:7168
	ds_read_u16 v10, v14 offset:7680
	ds_read_u16 v25, v14 offset:8192
	ds_read_u16 v28, v14 offset:8704
	ds_read_u16 v27, v14 offset:9216
	ds_read_u16 v24, v14 offset:9728
	ds_read_u16 v12, v14 offset:10240
	ds_read_u16 v11, v14 offset:10752
	ds_read_u16 v29, v14 offset:11264
	ds_read_u16 v30, v14 offset:11776
	v_mov_b32_e32 v15, 0
	v_lshl_add_u64 v[2:3], s[2:3], 0, v[14:15]
	v_cmp_gt_u32_e32 vcc, s20, v0
	s_and_saveexec_b64 s[2:3], vcc
	s_cbranch_execz .LBB93_156
; %bb.155:
	s_waitcnt lgkmcnt(14)
	global_store_short v[2:3], v5, off
.LBB93_156:
	s_or_b64 exec, exec, s[2:3]
	v_or_b32_e32 v1, 0x100, v0
	v_cmp_gt_u32_e32 vcc, s20, v1
	s_and_saveexec_b64 s[2:3], vcc
	s_cbranch_execz .LBB93_158
; %bb.157:
	s_waitcnt lgkmcnt(14)
	global_store_short v[2:3], v4, off offset:512
.LBB93_158:
	s_or_b64 exec, exec, s[2:3]
	v_or_b32_e32 v1, 0x200, v0
	v_cmp_gt_u32_e32 vcc, s20, v1
	s_and_saveexec_b64 s[2:3], vcc
	s_cbranch_execz .LBB93_160
; %bb.159:
	s_waitcnt lgkmcnt(14)
	global_store_short v[2:3], v7, off offset:1024
.LBB93_160:
	;; [unrolled: 9-line block ×7, first 2 shown]
	s_or_b64 exec, exec, s[2:3]
	v_or_b32_e32 v1, 0x800, v0
	v_cmp_gt_u32_e32 vcc, s20, v1
	s_and_saveexec_b64 s[2:3], vcc
	s_cbranch_execz .LBB93_172
; %bb.171:
	v_add_co_u32_e32 v32, vcc, 0x1000, v2
	s_nop 1
	v_addc_co_u32_e32 v33, vcc, 0, v3, vcc
	s_waitcnt lgkmcnt(14)
	global_store_short v[32:33], v18, off
.LBB93_172:
	s_or_b64 exec, exec, s[2:3]
	v_or_b32_e32 v1, 0x900, v0
	v_cmp_gt_u32_e32 vcc, s20, v1
	s_and_saveexec_b64 s[2:3], vcc
	s_cbranch_execz .LBB93_174
; %bb.173:
	v_add_co_u32_e32 v32, vcc, 0x1000, v2
	s_nop 1
	v_addc_co_u32_e32 v33, vcc, 0, v3, vcc
	s_waitcnt lgkmcnt(14)
	global_store_short v[32:33], v26, off offset:512
.LBB93_174:
	s_or_b64 exec, exec, s[2:3]
	v_or_b32_e32 v1, 0xa00, v0
	v_cmp_gt_u32_e32 vcc, s20, v1
	s_and_saveexec_b64 s[2:3], vcc
	s_cbranch_execz .LBB93_176
; %bb.175:
	v_add_co_u32_e32 v32, vcc, 0x1000, v2
	s_nop 1
	v_addc_co_u32_e32 v33, vcc, 0, v3, vcc
	s_waitcnt lgkmcnt(13)
	global_store_short v[32:33], v23, off offset:1024
.LBB93_176:
	;; [unrolled: 12-line block ×7, first 2 shown]
	s_or_b64 exec, exec, s[2:3]
	v_or_b32_e32 v1, 0x1000, v0
	v_cmp_gt_u32_e32 vcc, s20, v1
	s_and_saveexec_b64 s[2:3], vcc
	s_cbranch_execz .LBB93_188
; %bb.187:
	v_add_co_u32_e32 v32, vcc, 0x2000, v2
	s_nop 1
	v_addc_co_u32_e32 v33, vcc, 0, v3, vcc
	s_waitcnt lgkmcnt(7)
	global_store_short v[32:33], v25, off
.LBB93_188:
	s_or_b64 exec, exec, s[2:3]
	v_or_b32_e32 v1, 0x1100, v0
	v_cmp_gt_u32_e32 vcc, s20, v1
	s_and_saveexec_b64 s[2:3], vcc
	s_cbranch_execz .LBB93_190
; %bb.189:
	v_add_co_u32_e32 v32, vcc, 0x2000, v2
	s_nop 1
	v_addc_co_u32_e32 v33, vcc, 0, v3, vcc
	s_waitcnt lgkmcnt(6)
	global_store_short v[32:33], v28, off offset:512
.LBB93_190:
	s_or_b64 exec, exec, s[2:3]
	v_or_b32_e32 v1, 0x1200, v0
	v_cmp_gt_u32_e32 vcc, s20, v1
	s_and_saveexec_b64 s[2:3], vcc
	s_cbranch_execz .LBB93_192
; %bb.191:
	v_add_co_u32_e32 v32, vcc, 0x2000, v2
	s_nop 1
	v_addc_co_u32_e32 v33, vcc, 0, v3, vcc
	s_waitcnt lgkmcnt(5)
	global_store_short v[32:33], v27, off offset:1024
.LBB93_192:
	;; [unrolled: 12-line block ×7, first 2 shown]
	s_or_b64 exec, exec, s[2:3]
	s_load_dword s0, s[0:1], 0x40
	s_waitcnt lgkmcnt(0)
	s_bfe_u32 s0, s0, 0x10008
	s_cmp_eq_u32 s0, 0
	s_cbranch_scc1 .LBB93_210
; %bb.203:
	s_add_u32 s0, s20, -1
	s_addc_u32 s1, s21, -1
	s_add_u32 s2, 0, 0xaaaa0000
	s_addc_u32 s3, 0, 42
	s_add_i32 s3, s3, 0xaaaaa80
	s_mul_hi_u32 s7, s2, 0xffffffe8
	s_sub_i32 s7, s7, s2
	s_mul_i32 s8, s3, 0xffffffe8
	s_mul_i32 s4, s2, 0xffffffe8
	s_add_i32 s7, s7, s8
	s_mul_hi_u32 s5, s3, s4
	s_mul_i32 s6, s3, s4
	s_mul_i32 s9, s2, s7
	s_mul_hi_u32 s4, s2, s4
	s_mul_hi_u32 s8, s2, s7
	s_add_u32 s4, s4, s9
	s_addc_u32 s8, 0, s8
	s_add_u32 s4, s4, s6
	s_mul_hi_u32 s9, s3, s7
	s_addc_u32 s4, s8, s5
	s_addc_u32 s5, s9, 0
	s_mul_i32 s6, s3, s7
	s_add_u32 s4, s4, s6
	v_mov_b32_e32 v2, s4
	s_addc_u32 s5, 0, s5
	v_add_co_u32_e32 v2, vcc, s2, v2
	s_cmp_lg_u64 vcc, 0
	s_addc_u32 s2, s3, s5
	v_readfirstlane_b32 s5, v2
	s_mul_i32 s4, s0, s2
	s_mul_hi_u32 s6, s0, s5
	s_mul_hi_u32 s3, s0, s2
	s_add_u32 s4, s6, s4
	s_addc_u32 s3, 0, s3
	s_mul_hi_u32 s7, s1, s5
	s_mul_i32 s5, s1, s5
	s_add_u32 s4, s4, s5
	s_mul_hi_u32 s6, s1, s2
	s_addc_u32 s3, s3, s7
	s_addc_u32 s4, s6, 0
	s_mul_i32 s2, s1, s2
	s_add_u32 s2, s3, s2
	s_addc_u32 s3, 0, s4
	s_add_u32 s4, s2, 1
	s_addc_u32 s5, s3, 0
	s_add_u32 s6, s2, 2
	s_mul_i32 s8, s3, 24
	s_mul_hi_u32 s9, s2, 24
	s_addc_u32 s7, s3, 0
	s_add_i32 s9, s9, s8
	s_mul_i32 s8, s2, 24
	v_mov_b32_e32 v2, s8
	v_sub_co_u32_e32 v2, vcc, s0, v2
	s_cmp_lg_u64 vcc, 0
	s_subb_u32 s8, s1, s9
	v_subrev_co_u32_e32 v3, vcc, 24, v2
	s_cmp_lg_u64 vcc, 0
	s_subb_u32 s9, s8, 0
	v_readfirstlane_b32 s12, v3
	s_cmp_gt_u32 s12, 23
	s_cselect_b32 s12, -1, 0
	s_cmp_eq_u32 s9, 0
	s_cselect_b32 s9, s12, -1
	s_cmp_lg_u32 s9, 0
	s_cselect_b32 s4, s6, s4
	v_readfirstlane_b32 s6, v2
	s_cselect_b32 s5, s7, s5
	s_cmp_gt_u32 s6, 23
	s_cselect_b32 s6, -1, 0
	s_cmp_eq_u32 s8, 0
	s_cselect_b32 s6, s6, -1
	s_cmp_lg_u32 s6, 0
	v_mov_b32_e32 v1, v15
	s_cselect_b32 s3, s5, s3
	s_cselect_b32 s2, s4, s2
	v_cmp_eq_u64_e32 vcc, s[2:3], v[0:1]
	s_and_saveexec_b64 s[2:3], vcc
	s_cbranch_execz .LBB93_210
; %bb.204:
	v_mul_hi_u32_u24_e32 v1, 24, v0
	v_mov_b32_e32 v2, s1
	v_sub_co_u32_e32 v0, vcc, s0, v22
	s_mov_b64 s[0:1], 0
	s_nop 0
	v_subb_co_u32_e32 v1, vcc, v2, v1, vcc
	v_cmp_lt_i64_e32 vcc, 11, v[0:1]
	s_mov_b64 s[8:9], 0
	s_mov_b64 s[6:7], 0
	;; [unrolled: 1-line block ×3, first 2 shown]
	s_and_saveexec_b64 s[2:3], vcc
	s_xor_b64 s[2:3], exec, s[2:3]
	s_cbranch_execnz .LBB93_211
; %bb.205:
	s_andn2_saveexec_b64 s[2:3], s[2:3]
	s_cbranch_execnz .LBB93_256
.LBB93_206:
	s_or_b64 exec, exec, s[2:3]
	s_and_saveexec_b64 s[2:3], s[8:9]
	s_cbranch_execnz .LBB93_273
.LBB93_207:
	s_or_b64 exec, exec, s[2:3]
	s_and_saveexec_b64 s[2:3], s[6:7]
	s_cbranch_execnz .LBB93_274
.LBB93_208:
	s_or_b64 exec, exec, s[2:3]
	s_and_saveexec_b64 s[2:3], s[4:5]
	s_xor_b64 s[2:3], exec, s[2:3]
	s_cbranch_execnz .LBB93_275
.LBB93_209:
	s_or_b64 exec, exec, s[2:3]
	s_and_b64 exec, exec, s[0:1]
	s_cbranch_execnz .LBB93_276
.LBB93_210:
	s_endpgm
.LBB93_211:
	v_cmp_lt_i64_e32 vcc, 17, v[0:1]
	s_and_saveexec_b64 s[12:13], vcc
	s_xor_b64 s[12:13], exec, s[12:13]
	s_cbranch_execz .LBB93_233
; %bb.212:
	v_cmp_lt_i64_e32 vcc, 20, v[0:1]
                                        ; implicit-def: $vgpr10
	s_and_saveexec_b64 s[14:15], vcc
	s_xor_b64 s[14:15], exec, s[14:15]
	s_cbranch_execz .LBB93_222
; %bb.213:
	v_cmp_lt_i64_e32 vcc, 21, v[0:1]
	s_mov_b64 s[16:17], 0
                                        ; implicit-def: $vgpr10
	s_and_saveexec_b64 s[4:5], vcc
	s_xor_b64 s[4:5], exec, s[4:5]
	s_cbranch_execz .LBB93_219
; %bb.214:
	v_cmp_lt_i64_e32 vcc, 22, v[0:1]
	s_and_saveexec_b64 s[16:17], vcc
	s_xor_b64 s[16:17], exec, s[16:17]
	s_cbranch_execz .LBB93_216
; %bb.215:
	v_mov_b32_e32 v2, 0
	global_store_short v2, v30, s[10:11]
                                        ; implicit-def: $vgpr29
.LBB93_216:
	s_or_saveexec_b64 s[16:17], s[16:17]
	s_mov_b64 s[18:19], 0
	s_xor_b64 exec, exec, s[16:17]
; %bb.217:
	s_mov_b64 s[18:19], exec
; %bb.218:
	s_or_b64 exec, exec, s[16:17]
	s_and_b64 s[16:17], s[18:19], exec
	v_mov_b32_e32 v10, v29
                                        ; implicit-def: $vgpr11
.LBB93_219:
	s_andn2_saveexec_b64 s[4:5], s[4:5]
; %bb.220:
	s_mov_b64 s[6:7], exec
                                        ; implicit-def: $vgpr10
; %bb.221:
	s_or_b64 exec, exec, s[4:5]
	s_and_b64 s[4:5], s[16:17], exec
	s_and_b64 s[6:7], s[6:7], exec
                                        ; implicit-def: $vgpr27
                                        ; implicit-def: $vgpr12
                                        ; implicit-def: $vgpr24
.LBB93_222:
	s_andn2_saveexec_b64 s[14:15], s[14:15]
	s_cbranch_execz .LBB93_232
; %bb.223:
	v_cmp_lt_i64_e32 vcc, 18, v[0:1]
	s_mov_b64 s[16:17], 0
	s_and_saveexec_b64 s[8:9], vcc
	s_xor_b64 s[8:9], exec, s[8:9]
	s_cbranch_execz .LBB93_229
; %bb.224:
	v_cmp_lt_i64_e32 vcc, 19, v[0:1]
	s_and_saveexec_b64 s[18:19], vcc
	s_xor_b64 s[18:19], exec, s[18:19]
; %bb.225:
	s_mov_b64 s[16:17], exec
                                        ; implicit-def: $vgpr24
; %bb.226:
	s_andn2_saveexec_b64 s[18:19], s[18:19]
	s_cbranch_execz .LBB93_228
; %bb.227:
	v_mov_b32_e32 v2, 0
	global_store_short v2, v24, s[10:11]
                                        ; implicit-def: $vgpr12
.LBB93_228:
	s_or_b64 exec, exec, s[18:19]
	s_and_b64 s[16:17], s[16:17], exec
                                        ; implicit-def: $vgpr27
.LBB93_229:
	s_andn2_saveexec_b64 s[8:9], s[8:9]
	s_cbranch_execz .LBB93_231
; %bb.230:
	v_mov_b32_e32 v2, 0
	global_store_short v2, v27, s[10:11]
                                        ; implicit-def: $vgpr12
.LBB93_231:
	s_or_b64 exec, exec, s[8:9]
	s_and_b64 s[8:9], s[16:17], exec
                                        ; implicit-def: $vgpr10
                                        ; implicit-def: $vgpr11
.LBB93_232:
	s_or_b64 exec, exec, s[14:15]
	s_and_b64 s[4:5], s[4:5], exec
	s_and_b64 s[6:7], s[6:7], exec
	;; [unrolled: 1-line block ×3, first 2 shown]
                                        ; implicit-def: $vgpr20
                                        ; implicit-def: $vgpr13
                                        ; implicit-def: $vgpr16
                                        ; implicit-def: $vgpr25
                                        ; implicit-def: $vgpr28
.LBB93_233:
	s_andn2_saveexec_b64 s[12:13], s[12:13]
	s_cbranch_execz .LBB93_255
; %bb.234:
	v_cmp_lt_i64_e32 vcc, 14, v[0:1]
	s_mov_b64 s[14:15], s[4:5]
	s_and_saveexec_b64 s[16:17], vcc
	s_xor_b64 s[16:17], exec, s[16:17]
	s_cbranch_execz .LBB93_244
; %bb.235:
	v_cmp_lt_i64_e32 vcc, 15, v[0:1]
	s_and_saveexec_b64 s[14:15], vcc
	s_xor_b64 s[14:15], exec, s[14:15]
	s_cbranch_execz .LBB93_241
; %bb.236:
	v_cmp_lt_i64_e32 vcc, 16, v[0:1]
	s_and_saveexec_b64 s[18:19], vcc
	s_xor_b64 s[18:19], exec, s[18:19]
	s_cbranch_execz .LBB93_238
; %bb.237:
	v_mov_b32_e32 v2, 0
	global_store_short v2, v28, s[10:11]
                                        ; implicit-def: $vgpr25
.LBB93_238:
	s_andn2_saveexec_b64 s[18:19], s[18:19]
	s_cbranch_execz .LBB93_240
; %bb.239:
	v_mov_b32_e32 v2, 0
	global_store_short v2, v25, s[10:11]
.LBB93_240:
	s_or_b64 exec, exec, s[18:19]
                                        ; implicit-def: $vgpr10
.LBB93_241:
	s_or_saveexec_b64 s[14:15], s[14:15]
	s_mov_b64 s[18:19], s[4:5]
	s_xor_b64 exec, exec, s[14:15]
; %bb.242:
	s_or_b64 s[18:19], s[4:5], exec
; %bb.243:
	s_or_b64 exec, exec, s[14:15]
	s_andn2_b64 s[14:15], s[4:5], exec
	s_and_b64 s[18:19], s[18:19], exec
	s_or_b64 s[14:15], s[14:15], s[18:19]
                                        ; implicit-def: $vgpr20
                                        ; implicit-def: $vgpr13
                                        ; implicit-def: $vgpr16
.LBB93_244:
	s_or_saveexec_b64 s[16:17], s[16:17]
	s_mov_b64 s[18:19], s[6:7]
                                        ; implicit-def: $vgpr11
	s_xor_b64 exec, exec, s[16:17]
	s_cbranch_execz .LBB93_254
; %bb.245:
	v_cmp_lt_i64_e32 vcc, 12, v[0:1]
	s_mov_b64 s[20:21], s[6:7]
	s_mov_b64 s[22:23], s[14:15]
                                        ; implicit-def: $vgpr10
                                        ; implicit-def: $vgpr11
	s_and_saveexec_b64 s[18:19], vcc
	s_xor_b64 s[18:19], exec, s[18:19]
	s_cbranch_execz .LBB93_251
; %bb.246:
	v_cmp_lt_i64_e32 vcc, 13, v[0:1]
	s_mov_b64 s[20:21], s[14:15]
	s_and_saveexec_b64 s[22:23], vcc
	s_xor_b64 s[22:23], exec, s[22:23]
; %bb.247:
	s_or_b64 s[20:21], s[14:15], exec
                                        ; implicit-def: $vgpr13
; %bb.248:
	s_or_saveexec_b64 s[22:23], s[22:23]
	s_mov_b64 s[24:25], s[6:7]
	s_xor_b64 exec, exec, s[22:23]
; %bb.249:
	s_or_b64 s[24:25], s[6:7], exec
                                        ; implicit-def: $vgpr16
; %bb.250:
	s_or_b64 exec, exec, s[22:23]
	s_andn2_b64 s[22:23], s[14:15], exec
	s_and_b64 s[20:21], s[20:21], exec
	s_or_b64 s[22:23], s[22:23], s[20:21]
	s_andn2_b64 s[20:21], s[6:7], exec
	s_and_b64 s[24:25], s[24:25], exec
	s_or_b64 s[20:21], s[20:21], s[24:25]
	v_mov_b32_e32 v10, v16
	v_mov_b32_e32 v11, v13
                                        ; implicit-def: $vgpr20
.LBB93_251:
	s_andn2_saveexec_b64 s[18:19], s[18:19]
; %bb.252:
	s_or_b64 s[20:21], s[20:21], exec
                                        ; implicit-def: $vgpr10
	v_mov_b32_e32 v11, v20
; %bb.253:
	s_or_b64 exec, exec, s[18:19]
	s_andn2_b64 s[14:15], s[14:15], exec
	s_and_b64 s[18:19], s[22:23], exec
	s_or_b64 s[14:15], s[14:15], s[18:19]
	s_andn2_b64 s[18:19], s[6:7], exec
	s_and_b64 s[20:21], s[20:21], exec
	s_or_b64 s[18:19], s[18:19], s[20:21]
.LBB93_254:
	s_or_b64 exec, exec, s[16:17]
	s_andn2_b64 s[4:5], s[4:5], exec
	s_and_b64 s[14:15], s[14:15], exec
	s_or_b64 s[4:5], s[4:5], s[14:15]
	s_andn2_b64 s[6:7], s[6:7], exec
	s_and_b64 s[14:15], s[18:19], exec
	s_or_b64 s[6:7], s[6:7], s[14:15]
                                        ; implicit-def: $vgpr12
.LBB93_255:
	s_or_b64 exec, exec, s[12:13]
	s_and_b64 s[4:5], s[4:5], exec
	s_and_b64 s[6:7], s[6:7], exec
	;; [unrolled: 1-line block ×3, first 2 shown]
                                        ; implicit-def: $vgpr19
                                        ; implicit-def: $vgpr17
                                        ; implicit-def: $vgpr18
                                        ; implicit-def: $vgpr26
                                        ; implicit-def: $vgpr23
                                        ; implicit-def: $vgpr21
	s_andn2_saveexec_b64 s[2:3], s[2:3]
	s_cbranch_execz .LBB93_206
.LBB93_256:
	v_cmp_lt_i64_e32 vcc, 5, v[0:1]
	s_mov_b64 s[14:15], -1
	s_mov_b64 s[12:13], s[8:9]
	s_mov_b64 s[16:17], s[6:7]
	;; [unrolled: 1-line block ×3, first 2 shown]
                                        ; implicit-def: $vgpr10
                                        ; implicit-def: $vgpr11
                                        ; implicit-def: $vgpr12
	s_and_saveexec_b64 s[0:1], vcc
	s_cbranch_execz .LBB93_272
; %bb.257:
	v_cmp_lt_i64_e32 vcc, 8, v[0:1]
	s_mov_b64 s[12:13], s[8:9]
                                        ; implicit-def: $vgpr12
	s_and_saveexec_b64 s[14:15], vcc
	s_xor_b64 s[14:15], exec, s[14:15]
	s_cbranch_execz .LBB93_267
; %bb.258:
	v_cmp_lt_i64_e32 vcc, 9, v[0:1]
	s_and_saveexec_b64 s[12:13], vcc
	s_xor_b64 s[12:13], exec, s[12:13]
	s_cbranch_execz .LBB93_264
; %bb.259:
	v_cmp_lt_i64_e32 vcc, 10, v[0:1]
	s_and_saveexec_b64 s[16:17], vcc
	s_xor_b64 s[16:17], exec, s[16:17]
; %bb.260:
                                        ; implicit-def: $vgpr23
; %bb.261:
	s_andn2_saveexec_b64 s[16:17], s[16:17]
; %bb.262:
	v_mov_b32_e32 v21, v23
; %bb.263:
	s_or_b64 exec, exec, s[16:17]
                                        ; implicit-def: $vgpr26
.LBB93_264:
	s_andn2_saveexec_b64 s[12:13], s[12:13]
; %bb.265:
	v_mov_b32_e32 v21, v26
; %bb.266:
	s_or_b64 exec, exec, s[12:13]
	s_or_b64 s[12:13], s[8:9], exec
	v_mov_b32_e32 v12, v21
                                        ; implicit-def: $vgpr19
                                        ; implicit-def: $vgpr17
                                        ; implicit-def: $vgpr18
.LBB93_267:
	s_or_saveexec_b64 s[14:15], s[14:15]
	s_mov_b64 s[16:17], s[6:7]
	s_mov_b64 s[20:21], s[4:5]
                                        ; implicit-def: $vgpr10
                                        ; implicit-def: $vgpr11
	s_xor_b64 exec, exec, s[14:15]
	s_cbranch_execz .LBB93_271
; %bb.268:
	v_cmp_lt_i64_e32 vcc, 6, v[0:1]
	s_mov_b64 s[20:21], -1
	s_mov_b64 s[18:19], s[12:13]
	s_mov_b64 s[16:17], s[6:7]
	s_and_saveexec_b64 s[22:23], vcc
; %bb.269:
	v_cmp_lt_i64_e32 vcc, 7, v[0:1]
	s_andn2_b64 s[18:19], s[12:13], exec
	s_and_b64 s[24:25], vcc, exec
	s_xor_b64 s[20:21], exec, -1
	s_or_b64 s[16:17], s[6:7], exec
	s_or_b64 s[18:19], s[18:19], s[24:25]
                                        ; implicit-def: $vgpr19
; %bb.270:
	s_or_b64 exec, exec, s[22:23]
	s_andn2_b64 s[22:23], s[4:5], exec
	s_and_b64 s[20:21], s[20:21], exec
	s_or_b64 s[20:21], s[22:23], s[20:21]
	s_andn2_b64 s[22:23], s[6:7], exec
	s_and_b64 s[16:17], s[16:17], exec
	s_andn2_b64 s[12:13], s[12:13], exec
	s_and_b64 s[18:19], s[18:19], exec
	s_or_b64 s[16:17], s[22:23], s[16:17]
	s_or_b64 s[12:13], s[12:13], s[18:19]
	v_mov_b32_e32 v10, v19
	v_mov_b32_e32 v11, v17
	;; [unrolled: 1-line block ×3, first 2 shown]
.LBB93_271:
	s_or_b64 exec, exec, s[14:15]
	s_andn2_b64 s[18:19], s[4:5], exec
	s_and_b64 s[20:21], s[20:21], exec
	s_or_b64 s[18:19], s[18:19], s[20:21]
	s_andn2_b64 s[20:21], s[6:7], exec
	s_and_b64 s[16:17], s[16:17], exec
	s_or_b64 s[16:17], s[20:21], s[16:17]
	s_andn2_b64 s[20:21], s[8:9], exec
	s_and_b64 s[12:13], s[12:13], exec
	s_xor_b64 s[14:15], exec, -1
	s_or_b64 s[12:13], s[20:21], s[12:13]
.LBB93_272:
	s_or_b64 exec, exec, s[0:1]
	s_and_b64 s[0:1], s[14:15], exec
	s_andn2_b64 s[4:5], s[4:5], exec
	s_and_b64 s[14:15], s[18:19], exec
	s_or_b64 s[4:5], s[4:5], s[14:15]
	s_andn2_b64 s[6:7], s[6:7], exec
	s_and_b64 s[14:15], s[16:17], exec
	s_andn2_b64 s[8:9], s[8:9], exec
	s_and_b64 s[12:13], s[12:13], exec
	s_or_b64 s[6:7], s[6:7], s[14:15]
	s_or_b64 s[8:9], s[8:9], s[12:13]
	s_or_b64 exec, exec, s[2:3]
	s_and_saveexec_b64 s[2:3], s[8:9]
	s_cbranch_execz .LBB93_207
.LBB93_273:
	v_mov_b32_e32 v2, 0
	s_andn2_b64 s[6:7], s[6:7], exec
	global_store_short v2, v12, s[10:11]
                                        ; implicit-def: $vgpr10
                                        ; implicit-def: $vgpr11
	s_or_b64 exec, exec, s[2:3]
	s_and_saveexec_b64 s[2:3], s[6:7]
	s_cbranch_execz .LBB93_208
.LBB93_274:
	v_mov_b32_e32 v2, 0
	global_store_short v2, v11, s[10:11]
                                        ; implicit-def: $vgpr10
	s_or_b64 exec, exec, s[2:3]
	s_and_saveexec_b64 s[2:3], s[4:5]
	s_xor_b64 s[2:3], exec, s[2:3]
	s_cbranch_execz .LBB93_209
.LBB93_275:
	v_mov_b32_e32 v2, 0
	global_store_short v2, v10, s[10:11]
	s_or_b64 exec, exec, s[2:3]
	s_and_b64 exec, exec, s[0:1]
	s_cbranch_execz .LBB93_210
.LBB93_276:
	v_cmp_lt_i64_e32 vcc, 2, v[0:1]
	s_and_saveexec_b64 s[0:1], vcc
	s_xor_b64 s[0:1], exec, s[0:1]
	s_cbranch_execz .LBB93_286
; %bb.277:
	v_cmp_lt_i64_e32 vcc, 3, v[0:1]
	s_and_saveexec_b64 s[2:3], vcc
	s_xor_b64 s[2:3], exec, s[2:3]
	s_cbranch_execz .LBB93_283
; %bb.278:
	;; [unrolled: 5-line block ×3, first 2 shown]
	v_mov_b32_e32 v0, 0
	global_store_short v0, v9, s[10:11]
                                        ; implicit-def: $vgpr6
.LBB93_280:
	s_andn2_saveexec_b64 s[4:5], s[4:5]
	s_cbranch_execz .LBB93_282
; %bb.281:
	v_mov_b32_e32 v0, 0
	global_store_short v0, v6, s[10:11]
.LBB93_282:
	s_or_b64 exec, exec, s[4:5]
                                        ; implicit-def: $vgpr8
.LBB93_283:
	s_andn2_saveexec_b64 s[2:3], s[2:3]
	s_cbranch_execz .LBB93_285
; %bb.284:
	v_mov_b32_e32 v0, 0
	global_store_short v0, v8, s[10:11]
.LBB93_285:
	s_or_b64 exec, exec, s[2:3]
                                        ; implicit-def: $vgpr0_vgpr1
                                        ; implicit-def: $vgpr7
                                        ; implicit-def: $vgpr4
                                        ; implicit-def: $vgpr5
.LBB93_286:
	s_andn2_saveexec_b64 s[0:1], s[0:1]
	s_cbranch_execz .LBB93_210
; %bb.287:
	v_cmp_lt_i64_e32 vcc, 1, v[0:1]
	s_and_saveexec_b64 s[0:1], vcc
	s_xor_b64 s[0:1], exec, s[0:1]
	s_cbranch_execz .LBB93_289
; %bb.288:
	v_mov_b32_e32 v0, 0
	global_store_short v0, v7, s[10:11]
                                        ; implicit-def: $vgpr4
                                        ; implicit-def: $vgpr0_vgpr1
                                        ; implicit-def: $vgpr5
.LBB93_289:
	s_andn2_saveexec_b64 s[0:1], s[0:1]
	s_cbranch_execz .LBB93_210
; %bb.290:
	v_cmp_ne_u64_e32 vcc, 1, v[0:1]
	s_and_saveexec_b64 s[0:1], vcc
	s_xor_b64 s[0:1], exec, s[0:1]
	s_cbranch_execz .LBB93_292
; %bb.291:
	v_mov_b32_e32 v0, 0
	global_store_short v0, v5, s[10:11]
                                        ; implicit-def: $vgpr4
.LBB93_292:
	s_andn2_saveexec_b64 s[0:1], s[0:1]
	s_cbranch_execz .LBB93_210
; %bb.293:
	v_mov_b32_e32 v0, 0
	global_store_short v0, v4, s[10:11]
	s_endpgm
	.section	.rodata,"a",@progbits
	.p2align	6, 0x0
	.amdhsa_kernel _ZN7rocprim17ROCPRIM_304000_NS6detail20lookback_scan_kernelILNS1_25lookback_scan_determinismE0ELb0ENS1_19wrapped_scan_configINS0_14default_configEN3c108BFloat16EEEPKS7_PS7_St10multipliesIS7_ES7_S7_NS1_19lookback_scan_stateIS7_Lb0ELb1EEEEEvT2_T3_mT5_T4_T7_jPT6_SM_bb
		.amdhsa_group_segment_fixed_size 12288
		.amdhsa_private_segment_fixed_size 0
		.amdhsa_kernarg_size 68
		.amdhsa_user_sgpr_count 2
		.amdhsa_user_sgpr_dispatch_ptr 0
		.amdhsa_user_sgpr_queue_ptr 0
		.amdhsa_user_sgpr_kernarg_segment_ptr 1
		.amdhsa_user_sgpr_dispatch_id 0
		.amdhsa_user_sgpr_kernarg_preload_length 0
		.amdhsa_user_sgpr_kernarg_preload_offset 0
		.amdhsa_user_sgpr_private_segment_size 0
		.amdhsa_uses_dynamic_stack 0
		.amdhsa_enable_private_segment 0
		.amdhsa_system_sgpr_workgroup_id_x 1
		.amdhsa_system_sgpr_workgroup_id_y 0
		.amdhsa_system_sgpr_workgroup_id_z 0
		.amdhsa_system_sgpr_workgroup_info 0
		.amdhsa_system_vgpr_workitem_id 0
		.amdhsa_next_free_vgpr 69
		.amdhsa_next_free_sgpr 26
		.amdhsa_accum_offset 72
		.amdhsa_reserve_vcc 1
		.amdhsa_float_round_mode_32 0
		.amdhsa_float_round_mode_16_64 0
		.amdhsa_float_denorm_mode_32 3
		.amdhsa_float_denorm_mode_16_64 3
		.amdhsa_dx10_clamp 1
		.amdhsa_ieee_mode 1
		.amdhsa_fp16_overflow 0
		.amdhsa_tg_split 0
		.amdhsa_exception_fp_ieee_invalid_op 0
		.amdhsa_exception_fp_denorm_src 0
		.amdhsa_exception_fp_ieee_div_zero 0
		.amdhsa_exception_fp_ieee_overflow 0
		.amdhsa_exception_fp_ieee_underflow 0
		.amdhsa_exception_fp_ieee_inexact 0
		.amdhsa_exception_int_div_zero 0
	.end_amdhsa_kernel
	.section	.text._ZN7rocprim17ROCPRIM_304000_NS6detail20lookback_scan_kernelILNS1_25lookback_scan_determinismE0ELb0ENS1_19wrapped_scan_configINS0_14default_configEN3c108BFloat16EEEPKS7_PS7_St10multipliesIS7_ES7_S7_NS1_19lookback_scan_stateIS7_Lb0ELb1EEEEEvT2_T3_mT5_T4_T7_jPT6_SM_bb,"axG",@progbits,_ZN7rocprim17ROCPRIM_304000_NS6detail20lookback_scan_kernelILNS1_25lookback_scan_determinismE0ELb0ENS1_19wrapped_scan_configINS0_14default_configEN3c108BFloat16EEEPKS7_PS7_St10multipliesIS7_ES7_S7_NS1_19lookback_scan_stateIS7_Lb0ELb1EEEEEvT2_T3_mT5_T4_T7_jPT6_SM_bb,comdat
.Lfunc_end93:
	.size	_ZN7rocprim17ROCPRIM_304000_NS6detail20lookback_scan_kernelILNS1_25lookback_scan_determinismE0ELb0ENS1_19wrapped_scan_configINS0_14default_configEN3c108BFloat16EEEPKS7_PS7_St10multipliesIS7_ES7_S7_NS1_19lookback_scan_stateIS7_Lb0ELb1EEEEEvT2_T3_mT5_T4_T7_jPT6_SM_bb, .Lfunc_end93-_ZN7rocprim17ROCPRIM_304000_NS6detail20lookback_scan_kernelILNS1_25lookback_scan_determinismE0ELb0ENS1_19wrapped_scan_configINS0_14default_configEN3c108BFloat16EEEPKS7_PS7_St10multipliesIS7_ES7_S7_NS1_19lookback_scan_stateIS7_Lb0ELb1EEEEEvT2_T3_mT5_T4_T7_jPT6_SM_bb
                                        ; -- End function
	.section	.AMDGPU.csdata,"",@progbits
; Kernel info:
; codeLenInByte = 14476
; NumSgprs: 32
; NumVgprs: 69
; NumAgprs: 0
; TotalNumVgprs: 69
; ScratchSize: 0
; MemoryBound: 0
; FloatMode: 240
; IeeeMode: 1
; LDSByteSize: 12288 bytes/workgroup (compile time only)
; SGPRBlocks: 3
; VGPRBlocks: 8
; NumSGPRsForWavesPerEU: 32
; NumVGPRsForWavesPerEU: 69
; AccumOffset: 72
; Occupancy: 5
; WaveLimiterHint : 1
; COMPUTE_PGM_RSRC2:SCRATCH_EN: 0
; COMPUTE_PGM_RSRC2:USER_SGPR: 2
; COMPUTE_PGM_RSRC2:TRAP_HANDLER: 0
; COMPUTE_PGM_RSRC2:TGID_X_EN: 1
; COMPUTE_PGM_RSRC2:TGID_Y_EN: 0
; COMPUTE_PGM_RSRC2:TGID_Z_EN: 0
; COMPUTE_PGM_RSRC2:TIDIG_COMP_CNT: 0
; COMPUTE_PGM_RSRC3_GFX90A:ACCUM_OFFSET: 17
; COMPUTE_PGM_RSRC3_GFX90A:TG_SPLIT: 0
	.section	.text._ZN7rocprim17ROCPRIM_304000_NS6detail16transform_kernelINS1_24wrapped_transform_configINS0_14default_configEN3c108BFloat16EEES6_PS6_S8_NS0_8identityIS6_EEEEvT1_mT2_T3_,"axG",@progbits,_ZN7rocprim17ROCPRIM_304000_NS6detail16transform_kernelINS1_24wrapped_transform_configINS0_14default_configEN3c108BFloat16EEES6_PS6_S8_NS0_8identityIS6_EEEEvT1_mT2_T3_,comdat
	.protected	_ZN7rocprim17ROCPRIM_304000_NS6detail16transform_kernelINS1_24wrapped_transform_configINS0_14default_configEN3c108BFloat16EEES6_PS6_S8_NS0_8identityIS6_EEEEvT1_mT2_T3_ ; -- Begin function _ZN7rocprim17ROCPRIM_304000_NS6detail16transform_kernelINS1_24wrapped_transform_configINS0_14default_configEN3c108BFloat16EEES6_PS6_S8_NS0_8identityIS6_EEEEvT1_mT2_T3_
	.globl	_ZN7rocprim17ROCPRIM_304000_NS6detail16transform_kernelINS1_24wrapped_transform_configINS0_14default_configEN3c108BFloat16EEES6_PS6_S8_NS0_8identityIS6_EEEEvT1_mT2_T3_
	.p2align	8
	.type	_ZN7rocprim17ROCPRIM_304000_NS6detail16transform_kernelINS1_24wrapped_transform_configINS0_14default_configEN3c108BFloat16EEES6_PS6_S8_NS0_8identityIS6_EEEEvT1_mT2_T3_,@function
_ZN7rocprim17ROCPRIM_304000_NS6detail16transform_kernelINS1_24wrapped_transform_configINS0_14default_configEN3c108BFloat16EEES6_PS6_S8_NS0_8identityIS6_EEEEvT1_mT2_T3_: ; @_ZN7rocprim17ROCPRIM_304000_NS6detail16transform_kernelINS1_24wrapped_transform_configINS0_14default_configEN3c108BFloat16EEES6_PS6_S8_NS0_8identityIS6_EEEEvT1_mT2_T3_
; %bb.0:
	s_load_dword s3, s[0:1], 0x20
	s_load_dwordx4 s[4:7], s[0:1], 0x0
	s_load_dwordx2 s[12:13], s[0:1], 0x10
	s_lshl_b32 s0, s2, 11
	s_mov_b32 s1, 0
	s_waitcnt lgkmcnt(0)
	s_add_i32 s3, s3, -1
	s_lshl_b64 s[14:15], s[0:1], 1
	s_add_u32 s4, s4, s14
	s_addc_u32 s5, s5, s15
	v_mov_b32_e32 v3, 0
	v_lshlrev_b32_e32 v2, 1, v0
	s_cmp_lg_u32 s2, s3
	v_lshl_add_u64 v[4:5], s[4:5], 0, v[2:3]
	s_cbranch_scc0 .LBB94_2
; %bb.1:
	global_load_ushort v1, v[4:5], off
	global_load_ushort v3, v[4:5], off offset:512
	global_load_ushort v7, v[4:5], off offset:1024
	;; [unrolled: 1-line block ×7, first 2 shown]
	s_add_u32 s4, s12, s14
	s_addc_u32 s5, s13, s15
	s_mov_b64 s[16:17], -1
	s_waitcnt vmcnt(7)
	global_store_short v2, v1, s[4:5]
	s_waitcnt vmcnt(7)
	global_store_short v2, v3, s[4:5] offset:512
	s_waitcnt vmcnt(7)
	global_store_short v2, v7, s[4:5] offset:1024
	;; [unrolled: 2-line block ×6, first 2 shown]
	s_cbranch_execz .LBB94_3
	s_branch .LBB94_28
.LBB94_2:
	s_mov_b64 s[16:17], 0
                                        ; implicit-def: $vgpr6
.LBB94_3:
	s_sub_i32 s18, s6, s0
	v_cmp_gt_u32_e32 vcc, s18, v0
                                        ; implicit-def: $vgpr7
	s_and_saveexec_b64 s[0:1], vcc
	s_cbranch_execz .LBB94_5
; %bb.4:
	global_load_ushort v7, v[4:5], off
.LBB94_5:
	s_or_b64 exec, exec, s[0:1]
	v_or_b32_e32 v1, 0x100, v0
	v_cmp_gt_u32_e64 s[0:1], s18, v1
                                        ; implicit-def: $vgpr8
	s_and_saveexec_b64 s[2:3], s[0:1]
	s_cbranch_execz .LBB94_7
; %bb.6:
	global_load_ushort v8, v[4:5], off offset:512
.LBB94_7:
	s_or_b64 exec, exec, s[2:3]
	v_or_b32_e32 v1, 0x200, v0
	v_cmp_gt_u32_e64 s[2:3], s18, v1
                                        ; implicit-def: $vgpr9
	s_and_saveexec_b64 s[4:5], s[2:3]
	s_cbranch_execz .LBB94_9
; %bb.8:
	global_load_ushort v9, v[4:5], off offset:1024
.LBB94_9:
	s_or_b64 exec, exec, s[4:5]
	v_or_b32_e32 v1, 0x300, v0
	v_cmp_gt_u32_e64 s[4:5], s18, v1
                                        ; implicit-def: $vgpr10
	s_and_saveexec_b64 s[6:7], s[4:5]
	s_cbranch_execz .LBB94_11
; %bb.10:
	global_load_ushort v10, v[4:5], off offset:1536
.LBB94_11:
	s_or_b64 exec, exec, s[6:7]
	v_or_b32_e32 v1, 0x400, v0
	v_cmp_gt_u32_e64 s[6:7], s18, v1
                                        ; implicit-def: $vgpr11
	s_and_saveexec_b64 s[8:9], s[6:7]
	s_cbranch_execz .LBB94_13
; %bb.12:
	global_load_ushort v11, v[4:5], off offset:2048
.LBB94_13:
	s_or_b64 exec, exec, s[8:9]
	v_or_b32_e32 v1, 0x500, v0
	v_cmp_gt_u32_e64 s[8:9], s18, v1
                                        ; implicit-def: $vgpr12
	s_and_saveexec_b64 s[10:11], s[8:9]
	s_cbranch_execz .LBB94_15
; %bb.14:
	global_load_ushort v12, v[4:5], off offset:2560
.LBB94_15:
	s_or_b64 exec, exec, s[10:11]
	v_or_b32_e32 v1, 0x600, v0
	v_cmp_gt_u32_e64 s[10:11], s18, v1
                                        ; implicit-def: $vgpr13
	s_and_saveexec_b64 s[16:17], s[10:11]
	s_cbranch_execz .LBB94_17
; %bb.16:
	global_load_ushort v13, v[4:5], off offset:3072
.LBB94_17:
	s_or_b64 exec, exec, s[16:17]
	v_or_b32_e32 v0, 0x700, v0
	v_cmp_gt_u32_e64 s[16:17], s18, v0
                                        ; implicit-def: $vgpr6
	s_and_saveexec_b64 s[18:19], s[16:17]
	s_cbranch_execz .LBB94_19
; %bb.18:
	global_load_ushort v6, v[4:5], off offset:3584
.LBB94_19:
	s_or_b64 exec, exec, s[18:19]
	s_add_u32 s18, s12, s14
	s_addc_u32 s19, s13, s15
	v_mov_b32_e32 v3, 0
	v_lshl_add_u64 v[0:1], s[18:19], 0, v[2:3]
	s_and_saveexec_b64 s[18:19], vcc
	s_xor_b64 s[18:19], exec, s[18:19]
	s_cbranch_execnz .LBB94_31
; %bb.20:
	s_or_b64 exec, exec, s[18:19]
	s_and_saveexec_b64 s[18:19], s[0:1]
	s_cbranch_execnz .LBB94_32
.LBB94_21:
	s_or_b64 exec, exec, s[18:19]
	s_and_saveexec_b64 s[0:1], s[2:3]
	s_cbranch_execnz .LBB94_33
.LBB94_22:
	s_or_b64 exec, exec, s[0:1]
	s_and_saveexec_b64 s[0:1], s[4:5]
	s_cbranch_execnz .LBB94_34
.LBB94_23:
	s_or_b64 exec, exec, s[0:1]
	s_and_saveexec_b64 s[0:1], s[6:7]
	s_cbranch_execnz .LBB94_35
.LBB94_24:
	s_or_b64 exec, exec, s[0:1]
	s_and_saveexec_b64 s[0:1], s[8:9]
	s_cbranch_execnz .LBB94_36
.LBB94_25:
	s_or_b64 exec, exec, s[0:1]
	s_and_saveexec_b64 s[0:1], s[10:11]
	s_cbranch_execz .LBB94_27
.LBB94_26:
	s_waitcnt vmcnt(0)
	global_store_short v[0:1], v13, off offset:3072
.LBB94_27:
	s_or_b64 exec, exec, s[0:1]
.LBB94_28:
	s_and_saveexec_b64 s[0:1], s[16:17]
	s_cbranch_execnz .LBB94_30
; %bb.29:
	s_endpgm
.LBB94_30:
	s_add_u32 s0, s12, s14
	s_addc_u32 s1, s13, s15
	s_waitcnt vmcnt(0)
	global_store_short v2, v6, s[0:1] offset:3584
	s_endpgm
.LBB94_31:
	s_waitcnt vmcnt(0)
	global_store_short v[0:1], v7, off
	s_or_b64 exec, exec, s[18:19]
	s_and_saveexec_b64 s[18:19], s[0:1]
	s_cbranch_execz .LBB94_21
.LBB94_32:
	s_waitcnt vmcnt(0)
	global_store_short v[0:1], v8, off offset:512
	s_or_b64 exec, exec, s[18:19]
	s_and_saveexec_b64 s[0:1], s[2:3]
	s_cbranch_execz .LBB94_22
.LBB94_33:
	s_waitcnt vmcnt(0)
	global_store_short v[0:1], v9, off offset:1024
	s_or_b64 exec, exec, s[0:1]
	s_and_saveexec_b64 s[0:1], s[4:5]
	s_cbranch_execz .LBB94_23
.LBB94_34:
	s_waitcnt vmcnt(0)
	global_store_short v[0:1], v10, off offset:1536
	s_or_b64 exec, exec, s[0:1]
	s_and_saveexec_b64 s[0:1], s[6:7]
	s_cbranch_execz .LBB94_24
.LBB94_35:
	s_waitcnt vmcnt(0)
	global_store_short v[0:1], v11, off offset:2048
	s_or_b64 exec, exec, s[0:1]
	s_and_saveexec_b64 s[0:1], s[8:9]
	s_cbranch_execz .LBB94_25
.LBB94_36:
	s_waitcnt vmcnt(0)
	global_store_short v[0:1], v12, off offset:2560
	s_or_b64 exec, exec, s[0:1]
	s_and_saveexec_b64 s[0:1], s[10:11]
	s_cbranch_execnz .LBB94_26
	s_branch .LBB94_27
	.section	.rodata,"a",@progbits
	.p2align	6, 0x0
	.amdhsa_kernel _ZN7rocprim17ROCPRIM_304000_NS6detail16transform_kernelINS1_24wrapped_transform_configINS0_14default_configEN3c108BFloat16EEES6_PS6_S8_NS0_8identityIS6_EEEEvT1_mT2_T3_
		.amdhsa_group_segment_fixed_size 0
		.amdhsa_private_segment_fixed_size 0
		.amdhsa_kernarg_size 288
		.amdhsa_user_sgpr_count 2
		.amdhsa_user_sgpr_dispatch_ptr 0
		.amdhsa_user_sgpr_queue_ptr 0
		.amdhsa_user_sgpr_kernarg_segment_ptr 1
		.amdhsa_user_sgpr_dispatch_id 0
		.amdhsa_user_sgpr_kernarg_preload_length 0
		.amdhsa_user_sgpr_kernarg_preload_offset 0
		.amdhsa_user_sgpr_private_segment_size 0
		.amdhsa_uses_dynamic_stack 0
		.amdhsa_enable_private_segment 0
		.amdhsa_system_sgpr_workgroup_id_x 1
		.amdhsa_system_sgpr_workgroup_id_y 0
		.amdhsa_system_sgpr_workgroup_id_z 0
		.amdhsa_system_sgpr_workgroup_info 0
		.amdhsa_system_vgpr_workitem_id 0
		.amdhsa_next_free_vgpr 14
		.amdhsa_next_free_sgpr 20
		.amdhsa_accum_offset 16
		.amdhsa_reserve_vcc 1
		.amdhsa_float_round_mode_32 0
		.amdhsa_float_round_mode_16_64 0
		.amdhsa_float_denorm_mode_32 3
		.amdhsa_float_denorm_mode_16_64 3
		.amdhsa_dx10_clamp 1
		.amdhsa_ieee_mode 1
		.amdhsa_fp16_overflow 0
		.amdhsa_tg_split 0
		.amdhsa_exception_fp_ieee_invalid_op 0
		.amdhsa_exception_fp_denorm_src 0
		.amdhsa_exception_fp_ieee_div_zero 0
		.amdhsa_exception_fp_ieee_overflow 0
		.amdhsa_exception_fp_ieee_underflow 0
		.amdhsa_exception_fp_ieee_inexact 0
		.amdhsa_exception_int_div_zero 0
	.end_amdhsa_kernel
	.section	.text._ZN7rocprim17ROCPRIM_304000_NS6detail16transform_kernelINS1_24wrapped_transform_configINS0_14default_configEN3c108BFloat16EEES6_PS6_S8_NS0_8identityIS6_EEEEvT1_mT2_T3_,"axG",@progbits,_ZN7rocprim17ROCPRIM_304000_NS6detail16transform_kernelINS1_24wrapped_transform_configINS0_14default_configEN3c108BFloat16EEES6_PS6_S8_NS0_8identityIS6_EEEEvT1_mT2_T3_,comdat
.Lfunc_end94:
	.size	_ZN7rocprim17ROCPRIM_304000_NS6detail16transform_kernelINS1_24wrapped_transform_configINS0_14default_configEN3c108BFloat16EEES6_PS6_S8_NS0_8identityIS6_EEEEvT1_mT2_T3_, .Lfunc_end94-_ZN7rocprim17ROCPRIM_304000_NS6detail16transform_kernelINS1_24wrapped_transform_configINS0_14default_configEN3c108BFloat16EEES6_PS6_S8_NS0_8identityIS6_EEEEvT1_mT2_T3_
                                        ; -- End function
	.section	.AMDGPU.csdata,"",@progbits
; Kernel info:
; codeLenInByte = 832
; NumSgprs: 26
; NumVgprs: 14
; NumAgprs: 0
; TotalNumVgprs: 14
; ScratchSize: 0
; MemoryBound: 0
; FloatMode: 240
; IeeeMode: 1
; LDSByteSize: 0 bytes/workgroup (compile time only)
; SGPRBlocks: 3
; VGPRBlocks: 1
; NumSGPRsForWavesPerEU: 26
; NumVGPRsForWavesPerEU: 14
; AccumOffset: 16
; Occupancy: 8
; WaveLimiterHint : 1
; COMPUTE_PGM_RSRC2:SCRATCH_EN: 0
; COMPUTE_PGM_RSRC2:USER_SGPR: 2
; COMPUTE_PGM_RSRC2:TRAP_HANDLER: 0
; COMPUTE_PGM_RSRC2:TGID_X_EN: 1
; COMPUTE_PGM_RSRC2:TGID_Y_EN: 0
; COMPUTE_PGM_RSRC2:TGID_Z_EN: 0
; COMPUTE_PGM_RSRC2:TIDIG_COMP_CNT: 0
; COMPUTE_PGM_RSRC3_GFX90A:ACCUM_OFFSET: 3
; COMPUTE_PGM_RSRC3_GFX90A:TG_SPLIT: 0
	.section	.text._ZN7rocprim17ROCPRIM_304000_NS6detail18single_scan_kernelILb0ENS1_19wrapped_scan_configINS0_14default_configEN3c108BFloat16EEEPKS6_PS6_St10multipliesIS6_ES6_S6_EEvT1_mT4_T2_T3_,"axG",@progbits,_ZN7rocprim17ROCPRIM_304000_NS6detail18single_scan_kernelILb0ENS1_19wrapped_scan_configINS0_14default_configEN3c108BFloat16EEEPKS6_PS6_St10multipliesIS6_ES6_S6_EEvT1_mT4_T2_T3_,comdat
	.protected	_ZN7rocprim17ROCPRIM_304000_NS6detail18single_scan_kernelILb0ENS1_19wrapped_scan_configINS0_14default_configEN3c108BFloat16EEEPKS6_PS6_St10multipliesIS6_ES6_S6_EEvT1_mT4_T2_T3_ ; -- Begin function _ZN7rocprim17ROCPRIM_304000_NS6detail18single_scan_kernelILb0ENS1_19wrapped_scan_configINS0_14default_configEN3c108BFloat16EEEPKS6_PS6_St10multipliesIS6_ES6_S6_EEvT1_mT4_T2_T3_
	.globl	_ZN7rocprim17ROCPRIM_304000_NS6detail18single_scan_kernelILb0ENS1_19wrapped_scan_configINS0_14default_configEN3c108BFloat16EEEPKS6_PS6_St10multipliesIS6_ES6_S6_EEvT1_mT4_T2_T3_
	.p2align	8
	.type	_ZN7rocprim17ROCPRIM_304000_NS6detail18single_scan_kernelILb0ENS1_19wrapped_scan_configINS0_14default_configEN3c108BFloat16EEEPKS6_PS6_St10multipliesIS6_ES6_S6_EEvT1_mT4_T2_T3_,@function
_ZN7rocprim17ROCPRIM_304000_NS6detail18single_scan_kernelILb0ENS1_19wrapped_scan_configINS0_14default_configEN3c108BFloat16EEEPKS6_PS6_St10multipliesIS6_ES6_S6_EEvT1_mT4_T2_T3_: ; @_ZN7rocprim17ROCPRIM_304000_NS6detail18single_scan_kernelILb0ENS1_19wrapped_scan_configINS0_14default_configEN3c108BFloat16EEEPKS6_PS6_St10multipliesIS6_ES6_S6_EEvT1_mT4_T2_T3_
; %bb.0:
	s_load_dwordx4 s[52:55], s[0:1], 0x0
	v_mov_b32_e32 v7, 0
	v_lshlrev_b32_e32 v6, 1, v0
	s_waitcnt lgkmcnt(0)
	global_load_ushort v1, v7, s[52:53]
	v_lshl_add_u64 v[2:3], s[52:53], 0, v[6:7]
	v_cmp_gt_u32_e64 s[50:51], s54, v0
	s_waitcnt vmcnt(0)
	v_mov_b32_e32 v4, v1
	s_and_saveexec_b64 s[2:3], s[50:51]
	s_cbranch_execz .LBB95_2
; %bb.1:
	global_load_ushort v4, v[2:3], off
.LBB95_2:
	s_or_b64 exec, exec, s[2:3]
	v_or_b32_e32 v5, 0x100, v0
	v_cmp_gt_u32_e64 s[2:3], s54, v5
	v_mov_b32_e32 v5, v1
	s_and_saveexec_b64 s[4:5], s[2:3]
	s_cbranch_execz .LBB95_4
; %bb.3:
	global_load_ushort v5, v[2:3], off offset:512
.LBB95_4:
	s_or_b64 exec, exec, s[4:5]
	v_or_b32_e32 v7, 0x200, v0
	v_cmp_gt_u32_e64 s[4:5], s54, v7
	v_mov_b32_e32 v7, v1
	s_and_saveexec_b64 s[6:7], s[4:5]
	s_cbranch_execz .LBB95_6
; %bb.5:
	global_load_ushort v7, v[2:3], off offset:1024
.LBB95_6:
	;; [unrolled: 9-line block ×7, first 2 shown]
	s_or_b64 exec, exec, s[16:17]
	v_or_b32_e32 v13, 0x800, v0
	v_cmp_gt_u32_e64 s[16:17], s54, v13
	v_mov_b32_e32 v13, v1
	s_and_saveexec_b64 s[18:19], s[16:17]
	s_cbranch_execz .LBB95_18
; %bb.17:
	v_add_co_u32_e32 v14, vcc, 0x1000, v2
	s_nop 1
	v_addc_co_u32_e32 v15, vcc, 0, v3, vcc
	global_load_ushort v13, v[14:15], off
.LBB95_18:
	s_or_b64 exec, exec, s[18:19]
	v_or_b32_e32 v14, 0x900, v0
	v_cmp_gt_u32_e64 s[18:19], s54, v14
	v_mov_b32_e32 v14, v1
	s_and_saveexec_b64 s[20:21], s[18:19]
	s_cbranch_execz .LBB95_20
; %bb.19:
	v_add_co_u32_e32 v14, vcc, 0x1000, v2
	s_nop 1
	v_addc_co_u32_e32 v15, vcc, 0, v3, vcc
	global_load_ushort v14, v[14:15], off offset:512
.LBB95_20:
	s_or_b64 exec, exec, s[20:21]
	v_or_b32_e32 v15, 0xa00, v0
	v_cmp_gt_u32_e64 s[20:21], s54, v15
	v_mov_b32_e32 v15, v1
	s_and_saveexec_b64 s[22:23], s[20:21]
	s_cbranch_execz .LBB95_22
; %bb.21:
	v_add_co_u32_e32 v16, vcc, 0x1000, v2
	s_nop 1
	v_addc_co_u32_e32 v17, vcc, 0, v3, vcc
	global_load_ushort v15, v[16:17], off offset:1024
.LBB95_22:
	;; [unrolled: 12-line block ×7, first 2 shown]
	s_or_b64 exec, exec, s[34:35]
	v_or_b32_e32 v21, 0x1000, v0
	v_cmp_gt_u32_e64 s[34:35], s54, v21
	v_mov_b32_e32 v21, v1
	s_and_saveexec_b64 s[36:37], s[34:35]
	s_cbranch_execz .LBB95_34
; %bb.33:
	v_add_co_u32_e32 v22, vcc, 0x2000, v2
	s_nop 1
	v_addc_co_u32_e32 v23, vcc, 0, v3, vcc
	global_load_ushort v21, v[22:23], off
.LBB95_34:
	s_or_b64 exec, exec, s[36:37]
	v_or_b32_e32 v22, 0x1100, v0
	v_cmp_gt_u32_e64 s[36:37], s54, v22
	v_mov_b32_e32 v22, v1
	s_and_saveexec_b64 s[38:39], s[36:37]
	s_cbranch_execz .LBB95_36
; %bb.35:
	v_add_co_u32_e32 v22, vcc, 0x2000, v2
	s_nop 1
	v_addc_co_u32_e32 v23, vcc, 0, v3, vcc
	global_load_ushort v22, v[22:23], off offset:512
.LBB95_36:
	s_or_b64 exec, exec, s[38:39]
	v_or_b32_e32 v23, 0x1200, v0
	v_cmp_gt_u32_e64 s[38:39], s54, v23
	v_mov_b32_e32 v23, v1
	s_and_saveexec_b64 s[40:41], s[38:39]
	s_cbranch_execz .LBB95_38
; %bb.37:
	v_add_co_u32_e32 v24, vcc, 0x2000, v2
	s_nop 1
	v_addc_co_u32_e32 v25, vcc, 0, v3, vcc
	global_load_ushort v23, v[24:25], off offset:1024
.LBB95_38:
	;; [unrolled: 12-line block ×6, first 2 shown]
	s_or_b64 exec, exec, s[48:49]
	v_or_b32_e32 v28, 0x1700, v0
	v_cmp_gt_u32_e64 s[48:49], s54, v28
	s_and_saveexec_b64 s[52:53], s[48:49]
	s_cbranch_execz .LBB95_48
; %bb.47:
	v_add_co_u32_e32 v2, vcc, 0x2000, v2
	s_nop 1
	v_addc_co_u32_e32 v3, vcc, 0, v3, vcc
	global_load_ushort v1, v[2:3], off offset:3584
.LBB95_48:
	s_or_b64 exec, exec, s[52:53]
	s_waitcnt vmcnt(0)
	ds_write_b16 v6, v4
	ds_write_b16 v6, v5 offset:512
	ds_write_b16 v6, v7 offset:1024
	;; [unrolled: 1-line block ×23, first 2 shown]
	v_mad_u32_u24 v1, v0, 46, v6
	s_waitcnt lgkmcnt(0)
	s_barrier
	ds_read_b128 v[2:5], v1
	ds_read_b128 v[12:15], v1 offset:16
	ds_read_b128 v[20:23], v1 offset:32
	s_movk_i32 s33, 0x7fff
	v_mov_b32_e32 v29, 0x7fc00000
	s_waitcnt lgkmcnt(2)
	v_and_b32_e32 v25, 0xffff0000, v2
	v_lshlrev_b32_e32 v28, 16, v2
	v_mul_f32_e32 v26, v25, v28
	v_bfe_u32 v1, v26, 16, 1
	v_add3_u32 v27, v26, v1, s33
	v_and_b32_e32 v1, 0xffff0000, v27
	v_cmp_o_f32_e32 vcc, v26, v26
	v_lshlrev_b32_e32 v24, 16, v3
	v_mov_b32_e32 v33, 0x7fc0
	v_cndmask_b32_e32 v1, v29, v1, vcc
	v_mul_f32_e32 v1, v1, v24
	v_bfe_u32 v7, v1, 16, 1
	v_add3_u32 v7, v1, v7, s33
	v_and_b32_e32 v7, 0xffff0000, v7
	v_cmp_o_f32_e32 vcc, v1, v1
	v_and_b32_e32 v1, 0xffff0000, v3
	s_waitcnt lgkmcnt(0)
	v_cndmask_b32_e32 v7, v29, v7, vcc
	v_mul_f32_e32 v3, v7, v1
	v_bfe_u32 v7, v3, 16, 1
	v_add3_u32 v7, v3, v7, s33
	v_and_b32_e32 v7, 0xffff0000, v7
	v_cmp_o_f32_e32 vcc, v3, v3
	v_lshlrev_b32_e32 v3, 16, v4
	v_and_b32_e32 v4, 0xffff0000, v4
	v_cndmask_b32_e32 v7, v29, v7, vcc
	v_mul_f32_e32 v7, v7, v3
	v_bfe_u32 v8, v7, 16, 1
	v_add3_u32 v8, v7, v8, s33
	v_and_b32_e32 v8, 0xffff0000, v8
	v_cmp_o_f32_e32 vcc, v7, v7
	s_barrier
	s_nop 0
	v_cndmask_b32_e32 v7, v29, v8, vcc
	v_mul_f32_e32 v7, v7, v4
	v_bfe_u32 v8, v7, 16, 1
	v_add3_u32 v8, v7, v8, s33
	v_and_b32_e32 v8, 0xffff0000, v8
	v_cmp_o_f32_e32 vcc, v7, v7
	v_lshlrev_b32_e32 v7, 16, v5
	v_and_b32_e32 v5, 0xffff0000, v5
	v_cndmask_b32_e32 v8, v29, v8, vcc
	v_mul_f32_e32 v8, v8, v7
	v_bfe_u32 v9, v8, 16, 1
	v_add3_u32 v9, v8, v9, s33
	v_and_b32_e32 v9, 0xffff0000, v9
	v_cmp_o_f32_e32 vcc, v8, v8
	s_nop 1
	v_cndmask_b32_e32 v8, v29, v9, vcc
	v_mul_f32_e32 v8, v8, v5
	v_bfe_u32 v9, v8, 16, 1
	v_add3_u32 v9, v8, v9, s33
	v_and_b32_e32 v9, 0xffff0000, v9
	v_cmp_o_f32_e32 vcc, v8, v8
	v_lshlrev_b32_e32 v8, 16, v12
	s_nop 0
	v_cndmask_b32_e32 v9, v29, v9, vcc
	v_mul_f32_e32 v9, v9, v8
	v_bfe_u32 v10, v9, 16, 1
	v_add3_u32 v10, v9, v10, s33
	v_and_b32_e32 v10, 0xffff0000, v10
	v_cmp_o_f32_e32 vcc, v9, v9
	v_and_b32_e32 v9, 0xffff0000, v12
	s_nop 0
	v_cndmask_b32_e32 v10, v29, v10, vcc
	v_mul_f32_e32 v10, v10, v9
	v_bfe_u32 v11, v10, 16, 1
	v_add3_u32 v11, v10, v11, s33
	v_and_b32_e32 v11, 0xffff0000, v11
	v_cmp_o_f32_e32 vcc, v10, v10
	v_lshlrev_b32_e32 v10, 16, v13
	s_nop 0
	v_cndmask_b32_e32 v11, v29, v11, vcc
	v_mul_f32_e32 v11, v11, v10
	v_bfe_u32 v12, v11, 16, 1
	v_add3_u32 v12, v11, v12, s33
	v_and_b32_e32 v12, 0xffff0000, v12
	v_cmp_o_f32_e32 vcc, v11, v11
	v_and_b32_e32 v11, 0xffff0000, v13
	;; [unrolled: 16-line block ×3, first 2 shown]
	s_nop 0
	v_cndmask_b32_e32 v16, v29, v16, vcc
	v_mul_f32_e32 v14, v16, v13
	v_bfe_u32 v16, v14, 16, 1
	v_add3_u32 v16, v14, v16, s33
	v_and_b32_e32 v16, 0xffff0000, v16
	v_cmp_o_f32_e32 vcc, v14, v14
	v_lshlrev_b32_e32 v14, 16, v15
	v_and_b32_e32 v15, 0xffff0000, v15
	v_cndmask_b32_e32 v16, v29, v16, vcc
	v_mul_f32_e32 v16, v16, v14
	v_bfe_u32 v17, v16, 16, 1
	v_add3_u32 v17, v16, v17, s33
	v_and_b32_e32 v17, 0xffff0000, v17
	v_cmp_o_f32_e32 vcc, v16, v16
	s_nop 1
	v_cndmask_b32_e32 v16, v29, v17, vcc
	v_mul_f32_e32 v16, v16, v15
	v_bfe_u32 v17, v16, 16, 1
	v_add3_u32 v17, v16, v17, s33
	v_and_b32_e32 v17, 0xffff0000, v17
	v_cmp_o_f32_e32 vcc, v16, v16
	v_lshlrev_b32_e32 v16, 16, v20
	s_nop 0
	v_cndmask_b32_e32 v17, v29, v17, vcc
	v_mul_f32_e32 v17, v17, v16
	v_bfe_u32 v18, v17, 16, 1
	v_add3_u32 v18, v17, v18, s33
	v_and_b32_e32 v18, 0xffff0000, v18
	v_cmp_o_f32_e32 vcc, v17, v17
	v_and_b32_e32 v17, 0xffff0000, v20
	s_nop 0
	v_cndmask_b32_e32 v18, v29, v18, vcc
	v_mul_f32_e32 v18, v18, v17
	v_bfe_u32 v19, v18, 16, 1
	v_add3_u32 v19, v18, v19, s33
	v_and_b32_e32 v19, 0xffff0000, v19
	v_cmp_o_f32_e32 vcc, v18, v18
	v_lshlrev_b32_e32 v18, 16, v21
	s_nop 0
	v_cndmask_b32_e32 v19, v29, v19, vcc
	v_mul_f32_e32 v19, v19, v18
	v_bfe_u32 v20, v19, 16, 1
	v_add3_u32 v20, v19, v20, s33
	v_and_b32_e32 v20, 0xffff0000, v20
	v_cmp_o_f32_e32 vcc, v19, v19
	v_and_b32_e32 v19, 0xffff0000, v21
	;; [unrolled: 16-line block ×3, first 2 shown]
	s_nop 0
	v_cndmask_b32_e32 v30, v29, v30, vcc
	v_mul_f32_e32 v22, v30, v21
	v_bfe_u32 v30, v22, 16, 1
	v_add3_u32 v30, v22, v30, s33
	v_and_b32_e32 v30, 0xffff0000, v30
	v_cmp_o_f32_e32 vcc, v22, v22
	v_lshlrev_b32_e32 v22, 16, v23
	v_and_b32_e32 v23, 0xffff0000, v23
	v_cndmask_b32_e32 v30, v29, v30, vcc
	v_mul_f32_e32 v30, v30, v22
	v_bfe_u32 v31, v30, 16, 1
	v_add3_u32 v31, v30, v31, s33
	v_and_b32_e32 v31, 0xffff0000, v31
	v_cmp_o_f32_e32 vcc, v30, v30
	s_nop 1
	v_cndmask_b32_e32 v29, v29, v31, vcc
	v_mul_f32_e32 v29, v29, v23
	v_bfe_u32 v30, v29, 16, 1
	v_add3_u32 v30, v29, v30, s33
	v_lshrrev_b32_e32 v30, 16, v30
	v_cmp_o_f32_e32 vcc, v29, v29
	v_mbcnt_lo_u32_b32 v29, -1, 0
	v_mbcnt_hi_u32_b32 v29, -1, v29
	v_cndmask_b32_e32 v31, v33, v30, vcc
	v_and_b32_e32 v32, 15, v29
	v_and_b32_e32 v30, 0xffff, v31
	v_cmp_ne_u32_e32 vcc, 0, v32
	s_nop 0
	v_mov_b32_dpp v34, v30 row_shr:1 row_mask:0xf bank_mask:0xf
	s_and_saveexec_b64 s[52:53], vcc
; %bb.49:
	v_lshlrev_b32_e32 v31, 16, v34
	v_lshlrev_b32_e32 v30, 16, v30
	v_mul_f32_e32 v30, v30, v31
	v_bfe_u32 v31, v30, 16, 1
	v_add3_u32 v31, v30, v31, s33
	v_lshrrev_b32_e32 v31, 16, v31
	v_cmp_o_f32_e32 vcc, v30, v30
	s_nop 1
	v_cndmask_b32_e32 v31, v33, v31, vcc
	v_and_b32_e32 v30, 0xffff, v31
; %bb.50:
	s_or_b64 exec, exec, s[52:53]
	s_nop 0
	v_mov_b32_dpp v33, v30 row_shr:2 row_mask:0xf bank_mask:0xf
	v_cmp_lt_u32_e32 vcc, 1, v32
	s_and_saveexec_b64 s[52:53], vcc
; %bb.51:
	v_lshlrev_b32_e32 v30, 16, v30
	v_lshlrev_b32_e32 v31, 16, v33
	v_mul_f32_e32 v30, v31, v30
	v_bfe_u32 v31, v30, 16, 1
	v_add3_u32 v31, v30, v31, s33
	v_lshrrev_b32_e32 v31, 16, v31
	v_mov_b32_e32 v33, 0x7fc0
	v_cmp_o_f32_e32 vcc, v30, v30
	s_nop 1
	v_cndmask_b32_e32 v31, v33, v31, vcc
	v_and_b32_e32 v30, 0xffff, v31
; %bb.52:
	s_or_b64 exec, exec, s[52:53]
	s_nop 0
	v_mov_b32_dpp v33, v30 row_shr:4 row_mask:0xf bank_mask:0xf
	v_cmp_lt_u32_e32 vcc, 3, v32
	s_and_saveexec_b64 s[52:53], vcc
; %bb.53:
	v_lshlrev_b32_e32 v30, 16, v30
	v_lshlrev_b32_e32 v31, 16, v33
	v_mul_f32_e32 v30, v31, v30
	v_bfe_u32 v31, v30, 16, 1
	v_add3_u32 v31, v30, v31, s33
	v_lshrrev_b32_e32 v31, 16, v31
	v_mov_b32_e32 v33, 0x7fc0
	;; [unrolled: 18-line block ×3, first 2 shown]
	v_cmp_o_f32_e32 vcc, v30, v30
	s_nop 1
	v_cndmask_b32_e32 v31, v32, v31, vcc
	v_and_b32_e32 v30, 0xffff, v31
; %bb.56:
	s_or_b64 exec, exec, s[52:53]
	v_and_b32_e32 v33, 16, v29
	v_mov_b32_dpp v32, v30 row_bcast:15 row_mask:0xf bank_mask:0xf
	v_cmp_ne_u32_e32 vcc, 0, v33
	s_and_saveexec_b64 s[52:53], vcc
; %bb.57:
	v_lshlrev_b32_e32 v30, 16, v30
	v_lshlrev_b32_e32 v31, 16, v32
	v_mul_f32_e32 v30, v31, v30
	v_bfe_u32 v31, v30, 16, 1
	v_add3_u32 v31, v30, v31, s33
	v_lshrrev_b32_e32 v31, 16, v31
	v_mov_b32_e32 v32, 0x7fc0
	v_cmp_o_f32_e32 vcc, v30, v30
	s_nop 1
	v_cndmask_b32_e32 v31, v32, v31, vcc
	v_and_b32_e32 v30, 0xffff, v31
; %bb.58:
	s_or_b64 exec, exec, s[52:53]
	s_nop 0
	v_mov_b32_dpp v32, v30 row_bcast:31 row_mask:0xf bank_mask:0xf
	v_cmp_lt_u32_e32 vcc, 31, v29
	s_and_saveexec_b64 s[52:53], vcc
; %bb.59:
	v_lshlrev_b32_e32 v30, 16, v30
	v_lshlrev_b32_e32 v31, 16, v32
	v_mul_f32_e32 v30, v31, v30
	v_bfe_u32 v31, v30, 16, 1
	v_add3_u32 v31, v30, v31, s33
	v_lshrrev_b32_e32 v31, 16, v31
	v_mov_b32_e32 v32, 0x7fc0
	v_cmp_o_f32_e32 vcc, v30, v30
	s_nop 1
	v_cndmask_b32_e32 v31, v32, v31, vcc
; %bb.60:
	s_or_b64 exec, exec, s[52:53]
	v_or_b32_e32 v30, 63, v0
	v_lshrrev_b32_e32 v32, 6, v0
	v_cmp_eq_u32_e32 vcc, v30, v0
	s_and_saveexec_b64 s[52:53], vcc
	s_cbranch_execz .LBB95_62
; %bb.61:
	v_lshlrev_b32_e32 v30, 1, v32
	ds_write_b16 v30, v31
.LBB95_62:
	s_or_b64 exec, exec, s[52:53]
	v_cmp_gt_u32_e32 vcc, 4, v0
	s_waitcnt lgkmcnt(0)
	s_barrier
	s_and_saveexec_b64 s[52:53], vcc
	s_cbranch_execz .LBB95_68
; %bb.63:
	ds_read_u16 v30, v6
	v_and_b32_e32 v33, 3, v29
	v_cmp_ne_u32_e32 vcc, 0, v33
	s_waitcnt lgkmcnt(0)
	v_and_b32_e32 v34, 0xffff, v30
	s_nop 1
	v_mov_b32_dpp v35, v34 row_shr:1 row_mask:0xf bank_mask:0xf
	s_and_saveexec_b64 s[54:55], vcc
; %bb.64:
	v_lshlrev_b32_e32 v30, 16, v34
	v_lshlrev_b32_e32 v34, 16, v35
	v_mul_f32_e32 v30, v34, v30
	v_bfe_u32 v34, v30, 16, 1
	v_add3_u32 v34, v30, v34, s33
	v_lshrrev_b32_e32 v34, 16, v34
	v_mov_b32_e32 v35, 0x7fc0
	v_cmp_o_f32_e32 vcc, v30, v30
	s_nop 1
	v_cndmask_b32_e32 v30, v35, v34, vcc
	v_and_b32_e32 v34, 0xffff, v30
; %bb.65:
	s_or_b64 exec, exec, s[54:55]
	s_nop 0
	v_mov_b32_dpp v35, v34 row_shr:2 row_mask:0xf bank_mask:0xf
	v_cmp_lt_u32_e32 vcc, 1, v33
	s_and_saveexec_b64 s[54:55], vcc
; %bb.66:
	v_lshlrev_b32_e32 v30, 16, v34
	v_lshlrev_b32_e32 v33, 16, v35
	v_mul_f32_e32 v30, v33, v30
	v_bfe_u32 v33, v30, 16, 1
	v_add3_u32 v33, v30, v33, s33
	v_lshrrev_b32_e32 v33, 16, v33
	v_mov_b32_e32 v34, 0x7fc0
	v_cmp_o_f32_e32 vcc, v30, v30
	s_nop 1
	v_cndmask_b32_e32 v30, v34, v33, vcc
; %bb.67:
	s_or_b64 exec, exec, s[54:55]
	ds_write_b16 v6, v30
.LBB95_68:
	s_or_b64 exec, exec, s[52:53]
	v_mul_u32_u24_e32 v30, 46, v0
	v_cmp_lt_u32_e32 vcc, 63, v0
	s_waitcnt lgkmcnt(0)
	s_barrier
	s_waitcnt lgkmcnt(0)
                                        ; implicit-def: $vgpr33
	s_and_saveexec_b64 s[52:53], vcc
	s_cbranch_execz .LBB95_70
; %bb.69:
	v_lshl_add_u32 v32, v32, 1, -2
	ds_read_u16 v33, v32
	v_lshlrev_b32_e32 v31, 16, v31
	v_mov_b32_e32 v32, 0x7fc0
	s_waitcnt lgkmcnt(0)
	v_lshlrev_b32_e32 v34, 16, v33
	v_mul_f32_e32 v31, v34, v31
	v_bfe_u32 v34, v31, 16, 1
	v_add3_u32 v34, v31, v34, s33
	v_lshrrev_b32_e32 v34, 16, v34
	v_cmp_o_f32_e32 vcc, v31, v31
	s_nop 1
	v_cndmask_b32_e32 v31, v32, v34, vcc
.LBB95_70:
	s_or_b64 exec, exec, s[52:53]
	v_add_u32_e32 v32, -1, v29
	v_and_b32_e32 v34, 64, v29
	v_cmp_lt_i32_e32 vcc, v32, v34
	v_and_b32_e32 v31, 0xffff, v31
	s_nop 0
	v_cndmask_b32_e32 v32, v32, v29, vcc
	v_lshlrev_b32_e32 v32, 2, v32
	ds_bpermute_b32 v31, v32, v31
	v_cmp_ne_u32_e32 vcc, 0, v0
	s_and_saveexec_b64 s[52:53], vcc
	s_cbranch_execz .LBB95_72
; %bb.71:
	v_cmp_eq_u32_e32 vcc, 0, v29
	v_mov_b32_e32 v26, 0x7fc0
	s_waitcnt lgkmcnt(0)
	v_cndmask_b32_e32 v0, v31, v33, vcc
	v_lshlrev_b32_e32 v0, 16, v0
	v_mul_f32_e32 v0, v28, v0
	v_bfe_u32 v2, v0, 16, 1
	v_add3_u32 v2, v0, v2, s33
	v_lshrrev_b32_e32 v2, 16, v2
	v_cmp_o_f32_e32 vcc, v0, v0
	s_nop 1
	v_cndmask_b32_e32 v2, v26, v2, vcc
	v_lshlrev_b32_e32 v0, 16, v2
	v_mul_f32_e32 v26, v25, v0
	v_bfe_u32 v0, v26, 16, 1
	v_add3_u32 v27, v26, v0, s33
.LBB95_72:
	s_or_b64 exec, exec, s[52:53]
	v_lshrrev_b32_e32 v0, 16, v27
	v_mov_b32_e32 v25, 0x7fc0
	v_cmp_o_f32_e32 vcc, v26, v26
	s_waitcnt lgkmcnt(0)
	s_barrier
	v_cndmask_b32_e32 v0, v25, v0, vcc
	v_lshlrev_b32_e32 v26, 16, v0
	v_mul_f32_e32 v24, v24, v26
	v_bfe_u32 v26, v24, 16, 1
	v_add3_u32 v26, v24, v26, s33
	v_lshrrev_b32_e32 v26, 16, v26
	v_cmp_o_f32_e32 vcc, v24, v24
	s_load_dwordx2 s[0:1], s[0:1], 0x18
	s_nop 0
	v_cndmask_b32_e32 v24, v25, v26, vcc
	v_lshlrev_b32_e32 v26, 16, v24
	v_mul_f32_e32 v1, v1, v26
	v_bfe_u32 v26, v1, 16, 1
	v_add3_u32 v26, v1, v26, s33
	v_lshrrev_b32_e32 v26, 16, v26
	v_cmp_o_f32_e32 vcc, v1, v1
	s_nop 1
	v_cndmask_b32_e32 v1, v25, v26, vcc
	v_lshlrev_b32_e32 v26, 16, v1
	v_mul_f32_e32 v3, v3, v26
	v_bfe_u32 v26, v3, 16, 1
	v_add3_u32 v26, v3, v26, s33
	v_lshrrev_b32_e32 v26, 16, v26
	v_cmp_o_f32_e32 vcc, v3, v3
	;; [unrolled: 8-line block ×21, first 2 shown]
	s_mov_b32 s33, 0x5040100
	v_perm_b32 v5, v5, v7, s33
	v_cndmask_b32_e32 v23, v25, v26, vcc
	v_add_u32_e32 v25, v6, v30
	v_perm_b32 v4, v4, v3, s33
	v_perm_b32 v3, v1, v24, s33
	;; [unrolled: 1-line block ×3, first 2 shown]
	ds_write_b128 v25, v[2:5]
	v_perm_b32 v3, v15, v14, s33
	v_perm_b32 v2, v13, v12, s33
	;; [unrolled: 1-line block ×4, first 2 shown]
	ds_write_b128 v25, v[0:3] offset:16
	v_perm_b32 v3, v23, v22, s33
	v_perm_b32 v2, v21, v20, s33
	;; [unrolled: 1-line block ×4, first 2 shown]
	ds_write_b128 v25, v[0:3] offset:32
	s_waitcnt lgkmcnt(0)
	s_barrier
	ds_read_u16 v26, v6 offset:512
	ds_read_u16 v25, v6 offset:1024
	;; [unrolled: 1-line block ×23, first 2 shown]
	v_mov_b32_e32 v7, 0
	v_lshl_add_u64 v[0:1], s[0:1], 0, v[6:7]
	s_and_saveexec_b64 s[0:1], s[50:51]
	s_cbranch_execnz .LBB95_97
; %bb.73:
	s_or_b64 exec, exec, s[0:1]
	s_and_saveexec_b64 s[0:1], s[2:3]
	s_cbranch_execnz .LBB95_98
.LBB95_74:
	s_or_b64 exec, exec, s[0:1]
	s_and_saveexec_b64 s[0:1], s[4:5]
	s_cbranch_execnz .LBB95_99
.LBB95_75:
	s_or_b64 exec, exec, s[0:1]
	s_and_saveexec_b64 s[0:1], s[6:7]
	s_cbranch_execnz .LBB95_100
.LBB95_76:
	s_or_b64 exec, exec, s[0:1]
	s_and_saveexec_b64 s[0:1], s[8:9]
	s_cbranch_execnz .LBB95_101
.LBB95_77:
	s_or_b64 exec, exec, s[0:1]
	s_and_saveexec_b64 s[0:1], s[10:11]
	s_cbranch_execnz .LBB95_102
.LBB95_78:
	s_or_b64 exec, exec, s[0:1]
	s_and_saveexec_b64 s[0:1], s[12:13]
	s_cbranch_execnz .LBB95_103
.LBB95_79:
	s_or_b64 exec, exec, s[0:1]
	s_and_saveexec_b64 s[0:1], s[14:15]
	s_cbranch_execnz .LBB95_104
.LBB95_80:
	s_or_b64 exec, exec, s[0:1]
	s_and_saveexec_b64 s[0:1], s[16:17]
	s_cbranch_execnz .LBB95_105
.LBB95_81:
	s_or_b64 exec, exec, s[0:1]
	s_and_saveexec_b64 s[0:1], s[18:19]
	s_cbranch_execnz .LBB95_106
.LBB95_82:
	s_or_b64 exec, exec, s[0:1]
	s_and_saveexec_b64 s[0:1], s[20:21]
	s_cbranch_execnz .LBB95_107
.LBB95_83:
	s_or_b64 exec, exec, s[0:1]
	s_and_saveexec_b64 s[0:1], s[22:23]
	s_cbranch_execnz .LBB95_108
.LBB95_84:
	s_or_b64 exec, exec, s[0:1]
	s_and_saveexec_b64 s[0:1], s[24:25]
	s_cbranch_execnz .LBB95_109
.LBB95_85:
	s_or_b64 exec, exec, s[0:1]
	s_and_saveexec_b64 s[0:1], s[26:27]
	s_cbranch_execnz .LBB95_110
.LBB95_86:
	s_or_b64 exec, exec, s[0:1]
	s_and_saveexec_b64 s[0:1], s[28:29]
	s_cbranch_execnz .LBB95_111
.LBB95_87:
	s_or_b64 exec, exec, s[0:1]
	s_and_saveexec_b64 s[0:1], s[30:31]
	s_cbranch_execnz .LBB95_112
.LBB95_88:
	s_or_b64 exec, exec, s[0:1]
	s_and_saveexec_b64 s[0:1], s[34:35]
	s_cbranch_execnz .LBB95_113
.LBB95_89:
	s_or_b64 exec, exec, s[0:1]
	s_and_saveexec_b64 s[0:1], s[36:37]
	s_cbranch_execnz .LBB95_114
.LBB95_90:
	s_or_b64 exec, exec, s[0:1]
	s_and_saveexec_b64 s[0:1], s[38:39]
	s_cbranch_execnz .LBB95_115
.LBB95_91:
	s_or_b64 exec, exec, s[0:1]
	s_and_saveexec_b64 s[0:1], s[40:41]
	s_cbranch_execnz .LBB95_116
.LBB95_92:
	s_or_b64 exec, exec, s[0:1]
	s_and_saveexec_b64 s[0:1], s[42:43]
	s_cbranch_execnz .LBB95_117
.LBB95_93:
	s_or_b64 exec, exec, s[0:1]
	s_and_saveexec_b64 s[0:1], s[44:45]
	s_cbranch_execnz .LBB95_118
.LBB95_94:
	s_or_b64 exec, exec, s[0:1]
	s_and_saveexec_b64 s[0:1], s[46:47]
	s_cbranch_execnz .LBB95_119
.LBB95_95:
	s_or_b64 exec, exec, s[0:1]
	s_and_saveexec_b64 s[0:1], s[48:49]
	s_cbranch_execnz .LBB95_120
.LBB95_96:
	s_endpgm
.LBB95_97:
	ds_read_u16 v6, v6
	s_waitcnt lgkmcnt(0)
	global_store_short v[0:1], v6, off
	s_or_b64 exec, exec, s[0:1]
	s_and_saveexec_b64 s[0:1], s[2:3]
	s_cbranch_execz .LBB95_74
.LBB95_98:
	s_waitcnt lgkmcnt(14)
	global_store_short v[0:1], v26, off offset:512
	s_or_b64 exec, exec, s[0:1]
	s_and_saveexec_b64 s[0:1], s[4:5]
	s_cbranch_execz .LBB95_75
.LBB95_99:
	s_waitcnt lgkmcnt(14)
	global_store_short v[0:1], v25, off offset:1024
	s_or_b64 exec, exec, s[0:1]
	s_and_saveexec_b64 s[0:1], s[6:7]
	s_cbranch_execz .LBB95_76
.LBB95_100:
	s_waitcnt lgkmcnt(14)
	global_store_short v[0:1], v24, off offset:1536
	s_or_b64 exec, exec, s[0:1]
	s_and_saveexec_b64 s[0:1], s[8:9]
	s_cbranch_execz .LBB95_77
.LBB95_101:
	s_waitcnt lgkmcnt(14)
	global_store_short v[0:1], v23, off offset:2048
	s_or_b64 exec, exec, s[0:1]
	s_and_saveexec_b64 s[0:1], s[10:11]
	s_cbranch_execz .LBB95_78
.LBB95_102:
	s_waitcnt lgkmcnt(14)
	global_store_short v[0:1], v22, off offset:2560
	s_or_b64 exec, exec, s[0:1]
	s_and_saveexec_b64 s[0:1], s[12:13]
	s_cbranch_execz .LBB95_79
.LBB95_103:
	s_waitcnt lgkmcnt(14)
	global_store_short v[0:1], v21, off offset:3072
	s_or_b64 exec, exec, s[0:1]
	s_and_saveexec_b64 s[0:1], s[14:15]
	s_cbranch_execz .LBB95_80
.LBB95_104:
	s_waitcnt lgkmcnt(14)
	global_store_short v[0:1], v20, off offset:3584
	s_or_b64 exec, exec, s[0:1]
	s_and_saveexec_b64 s[0:1], s[16:17]
	s_cbranch_execz .LBB95_81
.LBB95_105:
	v_add_co_u32_e32 v6, vcc, 0x1000, v0
	s_nop 1
	v_addc_co_u32_e32 v7, vcc, 0, v1, vcc
	s_waitcnt lgkmcnt(14)
	global_store_short v[6:7], v19, off
	s_or_b64 exec, exec, s[0:1]
	s_and_saveexec_b64 s[0:1], s[18:19]
	s_cbranch_execz .LBB95_82
.LBB95_106:
	v_add_co_u32_e32 v6, vcc, 0x1000, v0
	s_nop 1
	v_addc_co_u32_e32 v7, vcc, 0, v1, vcc
	s_waitcnt lgkmcnt(14)
	global_store_short v[6:7], v18, off offset:512
	s_or_b64 exec, exec, s[0:1]
	s_and_saveexec_b64 s[0:1], s[20:21]
	s_cbranch_execz .LBB95_83
.LBB95_107:
	v_add_co_u32_e32 v6, vcc, 0x1000, v0
	s_nop 1
	v_addc_co_u32_e32 v7, vcc, 0, v1, vcc
	s_waitcnt lgkmcnt(13)
	global_store_short v[6:7], v17, off offset:1024
	s_or_b64 exec, exec, s[0:1]
	s_and_saveexec_b64 s[0:1], s[22:23]
	s_cbranch_execz .LBB95_84
.LBB95_108:
	v_add_co_u32_e32 v6, vcc, 0x1000, v0
	s_nop 1
	v_addc_co_u32_e32 v7, vcc, 0, v1, vcc
	s_waitcnt lgkmcnt(12)
	global_store_short v[6:7], v16, off offset:1536
	s_or_b64 exec, exec, s[0:1]
	s_and_saveexec_b64 s[0:1], s[24:25]
	s_cbranch_execz .LBB95_85
.LBB95_109:
	v_add_co_u32_e32 v6, vcc, 0x1000, v0
	s_nop 1
	v_addc_co_u32_e32 v7, vcc, 0, v1, vcc
	s_waitcnt lgkmcnt(11)
	global_store_short v[6:7], v15, off offset:2048
	s_or_b64 exec, exec, s[0:1]
	s_and_saveexec_b64 s[0:1], s[26:27]
	s_cbranch_execz .LBB95_86
.LBB95_110:
	v_add_co_u32_e32 v6, vcc, 0x1000, v0
	s_nop 1
	v_addc_co_u32_e32 v7, vcc, 0, v1, vcc
	s_waitcnt lgkmcnt(10)
	global_store_short v[6:7], v14, off offset:2560
	s_or_b64 exec, exec, s[0:1]
	s_and_saveexec_b64 s[0:1], s[28:29]
	s_cbranch_execz .LBB95_87
.LBB95_111:
	v_add_co_u32_e32 v6, vcc, 0x1000, v0
	s_nop 1
	v_addc_co_u32_e32 v7, vcc, 0, v1, vcc
	s_waitcnt lgkmcnt(9)
	global_store_short v[6:7], v13, off offset:3072
	s_or_b64 exec, exec, s[0:1]
	s_and_saveexec_b64 s[0:1], s[30:31]
	s_cbranch_execz .LBB95_88
.LBB95_112:
	v_add_co_u32_e32 v6, vcc, 0x1000, v0
	s_nop 1
	v_addc_co_u32_e32 v7, vcc, 0, v1, vcc
	s_waitcnt lgkmcnt(8)
	global_store_short v[6:7], v12, off offset:3584
	s_or_b64 exec, exec, s[0:1]
	s_and_saveexec_b64 s[0:1], s[34:35]
	s_cbranch_execz .LBB95_89
.LBB95_113:
	v_add_co_u32_e32 v6, vcc, 0x2000, v0
	s_nop 1
	v_addc_co_u32_e32 v7, vcc, 0, v1, vcc
	s_waitcnt lgkmcnt(7)
	global_store_short v[6:7], v11, off
	s_or_b64 exec, exec, s[0:1]
	s_and_saveexec_b64 s[0:1], s[36:37]
	s_cbranch_execz .LBB95_90
.LBB95_114:
	v_add_co_u32_e32 v6, vcc, 0x2000, v0
	s_nop 1
	v_addc_co_u32_e32 v7, vcc, 0, v1, vcc
	s_waitcnt lgkmcnt(6)
	global_store_short v[6:7], v10, off offset:512
	s_or_b64 exec, exec, s[0:1]
	s_and_saveexec_b64 s[0:1], s[38:39]
	s_cbranch_execz .LBB95_91
.LBB95_115:
	v_add_co_u32_e32 v6, vcc, 0x2000, v0
	s_nop 1
	v_addc_co_u32_e32 v7, vcc, 0, v1, vcc
	s_waitcnt lgkmcnt(5)
	global_store_short v[6:7], v9, off offset:1024
	s_or_b64 exec, exec, s[0:1]
	s_and_saveexec_b64 s[0:1], s[40:41]
	s_cbranch_execz .LBB95_92
.LBB95_116:
	v_add_co_u32_e32 v6, vcc, 0x2000, v0
	s_nop 1
	v_addc_co_u32_e32 v7, vcc, 0, v1, vcc
	s_waitcnt lgkmcnt(4)
	global_store_short v[6:7], v8, off offset:1536
	s_or_b64 exec, exec, s[0:1]
	s_and_saveexec_b64 s[0:1], s[42:43]
	s_cbranch_execz .LBB95_93
.LBB95_117:
	v_add_co_u32_e32 v6, vcc, 0x2000, v0
	s_nop 1
	v_addc_co_u32_e32 v7, vcc, 0, v1, vcc
	s_waitcnt lgkmcnt(3)
	global_store_short v[6:7], v5, off offset:2048
	s_or_b64 exec, exec, s[0:1]
	s_and_saveexec_b64 s[0:1], s[44:45]
	s_cbranch_execz .LBB95_94
.LBB95_118:
	v_add_co_u32_e32 v6, vcc, 0x2000, v0
	s_nop 1
	v_addc_co_u32_e32 v7, vcc, 0, v1, vcc
	s_waitcnt lgkmcnt(2)
	global_store_short v[6:7], v4, off offset:2560
	s_or_b64 exec, exec, s[0:1]
	s_and_saveexec_b64 s[0:1], s[46:47]
	s_cbranch_execz .LBB95_95
.LBB95_119:
	s_waitcnt lgkmcnt(2)
	v_add_co_u32_e32 v4, vcc, 0x2000, v0
	s_nop 1
	v_addc_co_u32_e32 v5, vcc, 0, v1, vcc
	s_waitcnt lgkmcnt(1)
	global_store_short v[4:5], v3, off offset:3072
	s_or_b64 exec, exec, s[0:1]
	s_and_saveexec_b64 s[0:1], s[48:49]
	s_cbranch_execz .LBB95_96
.LBB95_120:
	v_add_co_u32_e32 v0, vcc, 0x2000, v0
	s_nop 1
	v_addc_co_u32_e32 v1, vcc, 0, v1, vcc
	s_waitcnt lgkmcnt(0)
	global_store_short v[0:1], v2, off offset:3584
	s_endpgm
	.section	.rodata,"a",@progbits
	.p2align	6, 0x0
	.amdhsa_kernel _ZN7rocprim17ROCPRIM_304000_NS6detail18single_scan_kernelILb0ENS1_19wrapped_scan_configINS0_14default_configEN3c108BFloat16EEEPKS6_PS6_St10multipliesIS6_ES6_S6_EEvT1_mT4_T2_T3_
		.amdhsa_group_segment_fixed_size 12288
		.amdhsa_private_segment_fixed_size 0
		.amdhsa_kernarg_size 36
		.amdhsa_user_sgpr_count 2
		.amdhsa_user_sgpr_dispatch_ptr 0
		.amdhsa_user_sgpr_queue_ptr 0
		.amdhsa_user_sgpr_kernarg_segment_ptr 1
		.amdhsa_user_sgpr_dispatch_id 0
		.amdhsa_user_sgpr_kernarg_preload_length 0
		.amdhsa_user_sgpr_kernarg_preload_offset 0
		.amdhsa_user_sgpr_private_segment_size 0
		.amdhsa_uses_dynamic_stack 0
		.amdhsa_enable_private_segment 0
		.amdhsa_system_sgpr_workgroup_id_x 1
		.amdhsa_system_sgpr_workgroup_id_y 0
		.amdhsa_system_sgpr_workgroup_id_z 0
		.amdhsa_system_sgpr_workgroup_info 0
		.amdhsa_system_vgpr_workitem_id 0
		.amdhsa_next_free_vgpr 36
		.amdhsa_next_free_sgpr 56
		.amdhsa_accum_offset 36
		.amdhsa_reserve_vcc 1
		.amdhsa_float_round_mode_32 0
		.amdhsa_float_round_mode_16_64 0
		.amdhsa_float_denorm_mode_32 3
		.amdhsa_float_denorm_mode_16_64 3
		.amdhsa_dx10_clamp 1
		.amdhsa_ieee_mode 1
		.amdhsa_fp16_overflow 0
		.amdhsa_tg_split 0
		.amdhsa_exception_fp_ieee_invalid_op 0
		.amdhsa_exception_fp_denorm_src 0
		.amdhsa_exception_fp_ieee_div_zero 0
		.amdhsa_exception_fp_ieee_overflow 0
		.amdhsa_exception_fp_ieee_underflow 0
		.amdhsa_exception_fp_ieee_inexact 0
		.amdhsa_exception_int_div_zero 0
	.end_amdhsa_kernel
	.section	.text._ZN7rocprim17ROCPRIM_304000_NS6detail18single_scan_kernelILb0ENS1_19wrapped_scan_configINS0_14default_configEN3c108BFloat16EEEPKS6_PS6_St10multipliesIS6_ES6_S6_EEvT1_mT4_T2_T3_,"axG",@progbits,_ZN7rocprim17ROCPRIM_304000_NS6detail18single_scan_kernelILb0ENS1_19wrapped_scan_configINS0_14default_configEN3c108BFloat16EEEPKS6_PS6_St10multipliesIS6_ES6_S6_EEvT1_mT4_T2_T3_,comdat
.Lfunc_end95:
	.size	_ZN7rocprim17ROCPRIM_304000_NS6detail18single_scan_kernelILb0ENS1_19wrapped_scan_configINS0_14default_configEN3c108BFloat16EEEPKS6_PS6_St10multipliesIS6_ES6_S6_EEvT1_mT4_T2_T3_, .Lfunc_end95-_ZN7rocprim17ROCPRIM_304000_NS6detail18single_scan_kernelILb0ENS1_19wrapped_scan_configINS0_14default_configEN3c108BFloat16EEEPKS6_PS6_St10multipliesIS6_ES6_S6_EEvT1_mT4_T2_T3_
                                        ; -- End function
	.section	.AMDGPU.csdata,"",@progbits
; Kernel info:
; codeLenInByte = 5928
; NumSgprs: 62
; NumVgprs: 36
; NumAgprs: 0
; TotalNumVgprs: 36
; ScratchSize: 0
; MemoryBound: 0
; FloatMode: 240
; IeeeMode: 1
; LDSByteSize: 12288 bytes/workgroup (compile time only)
; SGPRBlocks: 7
; VGPRBlocks: 4
; NumSGPRsForWavesPerEU: 62
; NumVGPRsForWavesPerEU: 36
; AccumOffset: 36
; Occupancy: 5
; WaveLimiterHint : 0
; COMPUTE_PGM_RSRC2:SCRATCH_EN: 0
; COMPUTE_PGM_RSRC2:USER_SGPR: 2
; COMPUTE_PGM_RSRC2:TRAP_HANDLER: 0
; COMPUTE_PGM_RSRC2:TGID_X_EN: 1
; COMPUTE_PGM_RSRC2:TGID_Y_EN: 0
; COMPUTE_PGM_RSRC2:TGID_Z_EN: 0
; COMPUTE_PGM_RSRC2:TIDIG_COMP_CNT: 0
; COMPUTE_PGM_RSRC3_GFX90A:ACCUM_OFFSET: 8
; COMPUTE_PGM_RSRC3_GFX90A:TG_SPLIT: 0
	.section	.text._ZN2at6native32tensor_kernel_scan_innermost_dimIN3c108BFloat16ESt10multipliesIS3_EEEvPT_PKS6_jjjS6_T0_,"axG",@progbits,_ZN2at6native32tensor_kernel_scan_innermost_dimIN3c108BFloat16ESt10multipliesIS3_EEEvPT_PKS6_jjjS6_T0_,comdat
	.protected	_ZN2at6native32tensor_kernel_scan_innermost_dimIN3c108BFloat16ESt10multipliesIS3_EEEvPT_PKS6_jjjS6_T0_ ; -- Begin function _ZN2at6native32tensor_kernel_scan_innermost_dimIN3c108BFloat16ESt10multipliesIS3_EEEvPT_PKS6_jjjS6_T0_
	.globl	_ZN2at6native32tensor_kernel_scan_innermost_dimIN3c108BFloat16ESt10multipliesIS3_EEEvPT_PKS6_jjjS6_T0_
	.p2align	8
	.type	_ZN2at6native32tensor_kernel_scan_innermost_dimIN3c108BFloat16ESt10multipliesIS3_EEEvPT_PKS6_jjjS6_T0_,@function
_ZN2at6native32tensor_kernel_scan_innermost_dimIN3c108BFloat16ESt10multipliesIS3_EEEvPT_PKS6_jjjS6_T0_: ; @_ZN2at6native32tensor_kernel_scan_innermost_dimIN3c108BFloat16ESt10multipliesIS3_EEEvPT_PKS6_jjjS6_T0_
; %bb.0:
	s_load_dwordx8 s[12:19], s[0:1], 0x0
	v_bfe_u32 v2, v0, 10, 10
	s_waitcnt lgkmcnt(0)
	s_lshl_b32 s3, 2, s18
	v_mul_lo_u32 v1, s3, v2
	s_mul_hi_u32 s4, s16, s17
	s_mov_b32 s20, s16
	v_lshl_add_u32 v20, v1, 1, 0
	s_cmp_lg_u32 s4, 0
	s_mov_b64 s[4:5], -1
	s_cbranch_scc1 .LBB96_26
; %bb.1:
	s_load_dword s6, s[0:1], 0x2c
	s_add_u32 s4, s0, 32
	s_addc_u32 s5, s1, 0
	s_waitcnt lgkmcnt(0)
	s_lshr_b32 s6, s6, 16
	s_mul_i32 s21, s2, s6
	s_cmp_ge_u32 s21, s16
	s_cbranch_scc1 .LBB96_25
; %bb.2:
	s_load_dword s27, s[4:5], 0x0
	s_lshl_b32 s26, 1, s18
	s_cmp_lg_u32 s17, 0
	v_and_b32_e32 v1, 0x3ff, v0
	s_cselect_b64 s[4:5], -1, 0
	v_lshl_add_u32 v3, v1, 1, v20
	v_add_u32_e32 v13, -2, v20
	v_cndmask_b32_e64 v4, 0, 1, s[4:5]
	v_lshl_add_u32 v12, s26, 1, v3
	v_cmp_eq_u32_e64 s[8:9], 0, v1
	v_lshl_add_u32 v14, s3, 1, v13
	s_waitcnt lgkmcnt(0)
	s_mul_i32 s27, s27, s6
	s_add_i32 s28, s18, 1
	v_cmp_ne_u32_e64 s[4:5], 1, v4
	v_mov_b32_e32 v5, 0
	s_movk_i32 s29, 0x7fff
	v_mov_b32_e32 v15, 0x7fc0
	s_branch .LBB96_4
.LBB96_3:                               ;   in Loop: Header=BB96_4 Depth=1
	s_add_i32 s21, s21, s27
	s_cmp_ge_u32 s21, s16
	s_cbranch_scc1 .LBB96_25
.LBB96_4:                               ; =>This Loop Header: Depth=1
                                        ;     Child Loop BB96_7 Depth 2
                                        ;       Child Loop BB96_16 Depth 3
	s_and_b64 vcc, exec, s[4:5]
	s_cbranch_vccnz .LBB96_3
; %bb.5:                                ;   in Loop: Header=BB96_4 Depth=1
	v_add_u32_e32 v10, s21, v2
	v_mul_lo_u32 v4, v10, s17
	v_lshlrev_b64 v[8:9], 1, v[4:5]
	v_lshl_add_u64 v[6:7], s[14:15], 0, v[8:9]
	v_lshl_add_u64 v[8:9], s[12:13], 0, v[8:9]
	v_cmp_gt_u32_e32 vcc, s16, v10
	v_cmp_le_u32_e64 s[6:7], s16, v10
	s_mov_b32 s30, 0
	v_mov_b32_e32 v16, s19
	s_branch .LBB96_7
.LBB96_6:                               ;   in Loop: Header=BB96_7 Depth=2
	s_or_b64 exec, exec, s[22:23]
	ds_read_u16 v16, v14
	s_add_i32 s30, s30, s3
	s_cmp_ge_u32 s30, s17
	s_waitcnt lgkmcnt(0)
	s_barrier
	s_cbranch_scc1 .LBB96_3
.LBB96_7:                               ;   Parent Loop BB96_4 Depth=1
                                        ; =>  This Loop Header: Depth=2
                                        ;       Child Loop BB96_16 Depth 3
	v_add_u32_e32 v4, s30, v1
	v_add_u32_e32 v10, s26, v4
	s_and_saveexec_b64 s[22:23], vcc
	s_cbranch_execz .LBB96_14
; %bb.8:                                ;   in Loop: Header=BB96_7 Depth=2
	v_cmp_gt_u32_e64 s[10:11], s17, v4
	v_mov_b32_e32 v11, s19
	s_and_saveexec_b64 s[24:25], s[10:11]
	s_cbranch_execz .LBB96_10
; %bb.9:                                ;   in Loop: Header=BB96_7 Depth=2
	v_lshl_add_u64 v[18:19], v[4:5], 1, v[6:7]
	global_load_ushort v11, v[18:19], off
.LBB96_10:                              ;   in Loop: Header=BB96_7 Depth=2
	s_or_b64 exec, exec, s[24:25]
	s_waitcnt vmcnt(0)
	ds_write_b16 v3, v11
	v_cmp_gt_u32_e64 s[10:11], s17, v10
	v_mov_b32_e32 v11, s19
	s_and_saveexec_b64 s[24:25], s[10:11]
	s_cbranch_execz .LBB96_12
; %bb.11:                               ;   in Loop: Header=BB96_7 Depth=2
	v_mov_b32_e32 v11, v5
	v_lshl_add_u64 v[18:19], v[10:11], 1, v[6:7]
	global_load_ushort v11, v[18:19], off
.LBB96_12:                              ;   in Loop: Header=BB96_7 Depth=2
	s_or_b64 exec, exec, s[24:25]
	s_waitcnt vmcnt(0)
	ds_write_b16 v12, v11
	s_and_b64 exec, exec, s[8:9]
	s_cbranch_execz .LBB96_14
; %bb.13:                               ;   in Loop: Header=BB96_7 Depth=2
	ds_read_u16 v11, v20
	v_lshlrev_b32_e32 v16, 16, v16
	s_waitcnt lgkmcnt(0)
	v_lshlrev_b32_e32 v11, 16, v11
	v_mul_f32_e32 v11, v11, v16
	v_bfe_u32 v16, v11, 16, 1
	v_add3_u32 v16, v11, v16, s29
	v_lshrrev_b32_e32 v16, 16, v16
	v_cmp_o_f32_e64 s[10:11], v11, v11
	s_nop 1
	v_cndmask_b32_e64 v11, v15, v16, s[10:11]
	ds_write_b16 v20, v11
.LBB96_14:                              ;   in Loop: Header=BB96_7 Depth=2
	s_or_b64 exec, exec, s[22:23]
	s_mov_b64 s[22:23], 0
	v_mov_b32_e32 v11, 0
	s_waitcnt lgkmcnt(0)
	s_barrier
	s_branch .LBB96_16
.LBB96_15:                              ;   in Loop: Header=BB96_16 Depth=3
	s_or_b64 exec, exec, s[24:25]
	v_cmp_eq_u32_e64 s[10:11], s28, v11
	s_or_b64 s[22:23], s[10:11], s[22:23]
	s_waitcnt lgkmcnt(0)
	s_barrier
	s_andn2_b64 exec, exec, s[22:23]
	s_cbranch_execz .LBB96_20
.LBB96_16:                              ;   Parent Loop BB96_4 Depth=1
                                        ;     Parent Loop BB96_7 Depth=2
                                        ; =>    This Inner Loop Header: Depth=3
	v_add_u32_e32 v16, 1, v11
	s_and_saveexec_b64 s[10:11], s[6:7]
	s_xor_b64 s[10:11], exec, s[10:11]
; %bb.17:                               ;   in Loop: Header=BB96_16 Depth=3
	v_add_u32_e32 v11, 1, v11
                                        ; implicit-def: $vgpr16
; %bb.18:                               ;   in Loop: Header=BB96_16 Depth=3
	s_andn2_saveexec_b64 s[24:25], s[10:11]
	s_cbranch_execz .LBB96_15
; %bb.19:                               ;   in Loop: Header=BB96_16 Depth=3
	v_lshlrev_b32_e64 v17, v11, 1
	v_lshrrev_b32_e32 v18, v11, v1
	v_bfm_b32 v11, v11, 0
	v_lshl_or_b32 v17, v18, v16, v17
	v_and_b32_e32 v11, v11, v1
	v_lshlrev_b32_e32 v17, 1, v17
	v_lshlrev_b32_e32 v11, 1, v11
	v_add3_u32 v11, v20, v17, v11
	v_add_u32_e32 v17, v13, v17
	ds_read_u16 v18, v11
	ds_read_u16 v17, v17
	s_waitcnt lgkmcnt(1)
	v_lshlrev_b32_e32 v18, 16, v18
	s_waitcnt lgkmcnt(0)
	v_lshlrev_b32_e32 v17, 16, v17
	v_mul_f32_e32 v17, v17, v18
	v_bfe_u32 v18, v17, 16, 1
	v_add3_u32 v18, v17, v18, s29
	v_lshrrev_b32_e32 v18, 16, v18
	v_cmp_o_f32_e64 s[10:11], v17, v17
	s_nop 1
	v_cndmask_b32_e64 v17, v15, v18, s[10:11]
	ds_write_b16 v11, v17
	v_mov_b32_e32 v11, v16
	s_branch .LBB96_15
.LBB96_20:                              ;   in Loop: Header=BB96_7 Depth=2
	s_or_b64 exec, exec, s[22:23]
	s_and_saveexec_b64 s[22:23], vcc
	s_cbranch_execz .LBB96_6
; %bb.21:                               ;   in Loop: Header=BB96_7 Depth=2
	v_cmp_gt_u32_e64 s[10:11], s17, v4
	s_and_saveexec_b64 s[24:25], s[10:11]
	s_cbranch_execz .LBB96_23
; %bb.22:                               ;   in Loop: Header=BB96_7 Depth=2
	ds_read_u16 v11, v3
	v_lshl_add_u64 v[16:17], v[4:5], 1, v[8:9]
	s_waitcnt lgkmcnt(0)
	global_store_short v[16:17], v11, off
.LBB96_23:                              ;   in Loop: Header=BB96_7 Depth=2
	s_or_b64 exec, exec, s[24:25]
	v_cmp_gt_u32_e64 s[10:11], s17, v10
	s_and_b64 exec, exec, s[10:11]
	s_cbranch_execz .LBB96_6
; %bb.24:                               ;   in Loop: Header=BB96_7 Depth=2
	ds_read_u16 v4, v12
	v_mov_b32_e32 v11, v5
	v_lshl_add_u64 v[10:11], v[10:11], 1, v[8:9]
	s_waitcnt lgkmcnt(0)
	global_store_short v[10:11], v4, off
	s_branch .LBB96_6
.LBB96_25:
	s_mov_b64 s[4:5], 0
.LBB96_26:
	s_andn2_b64 vcc, exec, s[4:5]
	s_cbranch_vccnz .LBB96_53
; %bb.27:
	s_load_dword s3, s[0:1], 0x2c
	s_add_u32 s4, s0, 32
	s_mov_b32 s21, 0
	s_addc_u32 s5, s1, 0
	v_mov_b64_e32 v[4:5], s[20:21]
	s_waitcnt lgkmcnt(0)
	s_lshr_b32 s0, s3, 16
	s_mul_hi_u32 s9, s0, s2
	s_mul_i32 s8, s0, s2
	v_cmp_ge_u64_e32 vcc, s[8:9], v[4:5]
	s_cbranch_vccnz .LBB96_53
; %bb.28:
	s_lshl_b32 s10, 1, s18
	s_load_dword s4, s[4:5], 0x0
	s_and_b32 s6, 0xffff, s0
	s_ashr_i32 s11, s10, 31
	s_cmp_lg_u32 s17, 0
	s_mov_b32 s22, s17
	v_and_b32_e32 v0, 0x3ff, v0
	s_cselect_b64 s[2:3], -1, 0
	s_lshl_b64 s[16:17], s[10:11], 1
	v_mov_b32_e32 v3, 0
	s_mov_b32 s23, s21
	v_lshl_add_u32 v21, v0, 1, v20
	s_lshl_b32 s5, s16, 1
	v_cndmask_b32_e64 v4, 0, 1, s[2:3]
	v_mov_b32_e32 v1, v3
	v_lshl_add_u32 v22, s10, 1, v21
	v_cmp_eq_u32_e64 s[0:1], 0, v0
	v_add3_u32 v23, v20, s5, -2
	s_waitcnt lgkmcnt(0)
	s_mul_i32 s33, s4, s6
	s_add_i32 s18, s18, 1
	v_cmp_ne_u32_e64 s[2:3], 1, v4
	s_movk_i32 s34, 0x7fff
	v_mov_b64_e32 v[4:5], s[20:21]
	v_mov_b32_e32 v24, 0x7fc0
	v_mov_b64_e32 v[6:7], s[22:23]
	s_branch .LBB96_30
.LBB96_29:                              ;   in Loop: Header=BB96_30 Depth=1
	s_add_u32 s8, s8, s33
	s_addc_u32 s9, s9, 0
	v_cmp_ge_u64_e32 vcc, s[8:9], v[4:5]
	s_cbranch_vccnz .LBB96_53
.LBB96_30:                              ; =>This Loop Header: Depth=1
                                        ;     Child Loop BB96_33 Depth 2
                                        ;       Child Loop BB96_43 Depth 3
	s_and_b64 vcc, exec, s[2:3]
	s_cbranch_vccnz .LBB96_29
; %bb.31:                               ;   in Loop: Header=BB96_30 Depth=1
	v_lshl_add_u64 v[12:13], s[8:9], 0, v[2:3]
	v_mad_u64_u32 v[8:9], s[4:5], v12, s22, 0
	v_mov_b32_e32 v10, v9
	v_mad_u64_u32 v[10:11], s[4:5], v13, s22, v[10:11]
	v_mov_b32_e32 v9, v10
	v_lshlrev_b64 v[10:11], 1, v[8:9]
	v_lshl_add_u64 v[8:9], s[14:15], 0, v[10:11]
	v_lshl_add_u64 v[10:11], s[12:13], 0, v[10:11]
	v_cmp_gt_u64_e64 s[4:5], s[20:21], v[12:13]
	v_cmp_le_u64_e64 s[6:7], s[20:21], v[12:13]
	s_mov_b64 s[24:25], 0
	v_mov_b32_e32 v16, s19
	s_branch .LBB96_33
.LBB96_32:                              ;   in Loop: Header=BB96_33 Depth=2
	s_or_b64 exec, exec, s[26:27]
	ds_read_u16 v16, v23
	s_add_u32 s24, s24, s16
	s_addc_u32 s25, s25, s17
	v_cmp_ge_u64_e32 vcc, s[24:25], v[6:7]
	s_waitcnt lgkmcnt(0)
	s_barrier
	s_cbranch_vccnz .LBB96_29
.LBB96_33:                              ;   Parent Loop BB96_30 Depth=1
                                        ; =>  This Loop Header: Depth=2
                                        ;       Child Loop BB96_43 Depth 3
	v_lshl_add_u64 v[14:15], s[24:25], 0, v[0:1]
	v_lshl_add_u64 v[12:13], v[14:15], 0, s[10:11]
	s_and_saveexec_b64 s[26:27], s[4:5]
	s_cbranch_execz .LBB96_40
; %bb.34:                               ;   in Loop: Header=BB96_33 Depth=2
	v_cmp_gt_u64_e32 vcc, s[22:23], v[14:15]
	v_mov_b32_e32 v17, s19
	s_and_saveexec_b64 s[28:29], vcc
	s_cbranch_execz .LBB96_36
; %bb.35:                               ;   in Loop: Header=BB96_33 Depth=2
	v_lshl_add_u64 v[18:19], v[14:15], 1, v[8:9]
	global_load_ushort v17, v[18:19], off
.LBB96_36:                              ;   in Loop: Header=BB96_33 Depth=2
	s_or_b64 exec, exec, s[28:29]
	s_waitcnt vmcnt(0)
	ds_write_b16 v21, v17
	v_cmp_gt_u64_e32 vcc, s[22:23], v[12:13]
	v_mov_b32_e32 v17, s19
	s_and_saveexec_b64 s[28:29], vcc
	s_cbranch_execz .LBB96_38
; %bb.37:                               ;   in Loop: Header=BB96_33 Depth=2
	v_lshl_add_u64 v[18:19], v[12:13], 1, v[8:9]
	global_load_ushort v17, v[18:19], off
.LBB96_38:                              ;   in Loop: Header=BB96_33 Depth=2
	s_or_b64 exec, exec, s[28:29]
	s_waitcnt vmcnt(0)
	ds_write_b16 v22, v17
	s_and_b64 exec, exec, s[0:1]
	s_cbranch_execz .LBB96_40
; %bb.39:                               ;   in Loop: Header=BB96_33 Depth=2
	ds_read_u16 v17, v20
	v_lshlrev_b32_e32 v16, 16, v16
	s_waitcnt lgkmcnt(0)
	v_lshlrev_b32_e32 v17, 16, v17
	v_mul_f32_e32 v16, v17, v16
	v_bfe_u32 v17, v16, 16, 1
	v_add3_u32 v17, v16, v17, s34
	v_lshrrev_b32_e32 v17, 16, v17
	v_cmp_o_f32_e32 vcc, v16, v16
	s_nop 1
	v_cndmask_b32_e32 v16, v24, v17, vcc
	ds_write_b16 v20, v16
.LBB96_40:                              ;   in Loop: Header=BB96_33 Depth=2
	s_or_b64 exec, exec, s[26:27]
	s_mov_b64 s[26:27], 0
	v_mov_b32_e32 v26, 0
	s_waitcnt lgkmcnt(0)
	s_barrier
	s_branch .LBB96_43
.LBB96_41:                              ;   in Loop: Header=BB96_43 Depth=3
	s_or_b64 exec, exec, s[30:31]
	v_lshrrev_b32_e32 v17, v26, v0
	v_lshl_or_b32 v16, v17, v25, v16
	v_lshl_add_u32 v16, v16, 1, v20
	v_lshl_add_u32 v17, v18, 1, v16
	v_add_u32_e32 v16, -2, v16
	ds_read_u16 v18, v17
	ds_read_u16 v16, v16
	s_waitcnt lgkmcnt(1)
	v_lshlrev_b32_e32 v18, 16, v18
	s_waitcnt lgkmcnt(0)
	v_lshlrev_b32_e32 v16, 16, v16
	v_mul_f32_e32 v16, v16, v18
	v_bfe_u32 v18, v16, 16, 1
	v_add3_u32 v18, v16, v18, s34
	v_lshrrev_b32_e32 v18, 16, v18
	v_cmp_o_f32_e32 vcc, v16, v16
	s_nop 1
	v_cndmask_b32_e32 v16, v24, v18, vcc
	ds_write_b16 v17, v16
.LBB96_42:                              ;   in Loop: Header=BB96_43 Depth=3
	s_or_b64 exec, exec, s[28:29]
	v_cmp_eq_u32_e32 vcc, s18, v25
	s_or_b64 s[26:27], vcc, s[26:27]
	v_mov_b32_e32 v26, v25
	s_waitcnt lgkmcnt(0)
	s_barrier
	s_andn2_b64 exec, exec, s[26:27]
	s_cbranch_execz .LBB96_48
.LBB96_43:                              ;   Parent Loop BB96_30 Depth=1
                                        ;     Parent Loop BB96_33 Depth=2
                                        ; =>    This Inner Loop Header: Depth=3
	v_add_u32_e32 v25, 1, v26
	s_and_saveexec_b64 s[28:29], s[6:7]
	s_xor_b64 s[28:29], exec, s[28:29]
; %bb.44:                               ;   in Loop: Header=BB96_43 Depth=3
	v_add_u32_e32 v25, 1, v26
                                        ; implicit-def: $vgpr26
; %bb.45:                               ;   in Loop: Header=BB96_43 Depth=3
	s_andn2_saveexec_b64 s[28:29], s[28:29]
	s_cbranch_execz .LBB96_42
; %bb.46:                               ;   in Loop: Header=BB96_43 Depth=3
	v_lshlrev_b32_e64 v16, v26, 1
	v_ashrrev_i32_e32 v17, 31, v16
	v_cmp_ge_u64_e32 vcc, v[0:1], v[16:17]
	v_mov_b64_e32 v[18:19], v[0:1]
	s_and_saveexec_b64 s[30:31], vcc
	s_cbranch_execz .LBB96_41
; %bb.47:                               ;   in Loop: Header=BB96_43 Depth=3
	v_cvt_f32_u32_e32 v17, v16
	v_sub_u32_e32 v18, 0, v16
	v_rcp_iflag_f32_e32 v17, v17
	s_nop 0
	v_mul_f32_e32 v17, 0x4f7ffffe, v17
	v_cvt_u32_f32_e32 v17, v17
	v_mul_lo_u32 v18, v18, v17
	v_mul_hi_u32 v18, v17, v18
	v_add_u32_e32 v17, v17, v18
	v_mul_hi_u32 v17, v0, v17
	v_mul_lo_u32 v17, v17, v16
	v_sub_u32_e32 v17, v0, v17
	v_sub_u32_e32 v18, v17, v16
	v_cmp_ge_u32_e32 vcc, v17, v16
	s_nop 1
	v_cndmask_b32_e32 v17, v17, v18, vcc
	v_sub_u32_e32 v18, v17, v16
	v_cmp_ge_u32_e32 vcc, v17, v16
	s_nop 1
	v_cndmask_b32_e32 v18, v17, v18, vcc
	s_branch .LBB96_41
.LBB96_48:                              ;   in Loop: Header=BB96_33 Depth=2
	s_or_b64 exec, exec, s[26:27]
	s_and_saveexec_b64 s[26:27], s[4:5]
	s_cbranch_execz .LBB96_32
; %bb.49:                               ;   in Loop: Header=BB96_33 Depth=2
	v_cmp_gt_u64_e32 vcc, s[22:23], v[14:15]
	s_and_saveexec_b64 s[28:29], vcc
	s_cbranch_execz .LBB96_51
; %bb.50:                               ;   in Loop: Header=BB96_33 Depth=2
	ds_read_u16 v16, v21
	v_lshl_add_u64 v[14:15], v[14:15], 1, v[10:11]
	s_waitcnt lgkmcnt(0)
	global_store_short v[14:15], v16, off
.LBB96_51:                              ;   in Loop: Header=BB96_33 Depth=2
	s_or_b64 exec, exec, s[28:29]
	v_cmp_gt_u64_e32 vcc, s[22:23], v[12:13]
	s_and_b64 exec, exec, vcc
	s_cbranch_execz .LBB96_32
; %bb.52:                               ;   in Loop: Header=BB96_33 Depth=2
	ds_read_u16 v14, v22
	v_lshl_add_u64 v[12:13], v[12:13], 1, v[10:11]
	s_waitcnt lgkmcnt(0)
	global_store_short v[12:13], v14, off
	s_branch .LBB96_32
.LBB96_53:
	s_endpgm
	.section	.rodata,"a",@progbits
	.p2align	6, 0x0
	.amdhsa_kernel _ZN2at6native32tensor_kernel_scan_innermost_dimIN3c108BFloat16ESt10multipliesIS3_EEEvPT_PKS6_jjjS6_T0_
		.amdhsa_group_segment_fixed_size 0
		.amdhsa_private_segment_fixed_size 0
		.amdhsa_kernarg_size 288
		.amdhsa_user_sgpr_count 2
		.amdhsa_user_sgpr_dispatch_ptr 0
		.amdhsa_user_sgpr_queue_ptr 0
		.amdhsa_user_sgpr_kernarg_segment_ptr 1
		.amdhsa_user_sgpr_dispatch_id 0
		.amdhsa_user_sgpr_kernarg_preload_length 0
		.amdhsa_user_sgpr_kernarg_preload_offset 0
		.amdhsa_user_sgpr_private_segment_size 0
		.amdhsa_uses_dynamic_stack 0
		.amdhsa_enable_private_segment 0
		.amdhsa_system_sgpr_workgroup_id_x 1
		.amdhsa_system_sgpr_workgroup_id_y 0
		.amdhsa_system_sgpr_workgroup_id_z 0
		.amdhsa_system_sgpr_workgroup_info 0
		.amdhsa_system_vgpr_workitem_id 1
		.amdhsa_next_free_vgpr 27
		.amdhsa_next_free_sgpr 35
		.amdhsa_accum_offset 28
		.amdhsa_reserve_vcc 1
		.amdhsa_float_round_mode_32 0
		.amdhsa_float_round_mode_16_64 0
		.amdhsa_float_denorm_mode_32 3
		.amdhsa_float_denorm_mode_16_64 3
		.amdhsa_dx10_clamp 1
		.amdhsa_ieee_mode 1
		.amdhsa_fp16_overflow 0
		.amdhsa_tg_split 0
		.amdhsa_exception_fp_ieee_invalid_op 0
		.amdhsa_exception_fp_denorm_src 0
		.amdhsa_exception_fp_ieee_div_zero 0
		.amdhsa_exception_fp_ieee_overflow 0
		.amdhsa_exception_fp_ieee_underflow 0
		.amdhsa_exception_fp_ieee_inexact 0
		.amdhsa_exception_int_div_zero 0
	.end_amdhsa_kernel
	.section	.text._ZN2at6native32tensor_kernel_scan_innermost_dimIN3c108BFloat16ESt10multipliesIS3_EEEvPT_PKS6_jjjS6_T0_,"axG",@progbits,_ZN2at6native32tensor_kernel_scan_innermost_dimIN3c108BFloat16ESt10multipliesIS3_EEEvPT_PKS6_jjjS6_T0_,comdat
.Lfunc_end96:
	.size	_ZN2at6native32tensor_kernel_scan_innermost_dimIN3c108BFloat16ESt10multipliesIS3_EEEvPT_PKS6_jjjS6_T0_, .Lfunc_end96-_ZN2at6native32tensor_kernel_scan_innermost_dimIN3c108BFloat16ESt10multipliesIS3_EEEvPT_PKS6_jjjS6_T0_
                                        ; -- End function
	.section	.AMDGPU.csdata,"",@progbits
; Kernel info:
; codeLenInByte = 1832
; NumSgprs: 41
; NumVgprs: 27
; NumAgprs: 0
; TotalNumVgprs: 27
; ScratchSize: 0
; MemoryBound: 0
; FloatMode: 240
; IeeeMode: 1
; LDSByteSize: 0 bytes/workgroup (compile time only)
; SGPRBlocks: 5
; VGPRBlocks: 3
; NumSGPRsForWavesPerEU: 41
; NumVGPRsForWavesPerEU: 27
; AccumOffset: 28
; Occupancy: 8
; WaveLimiterHint : 0
; COMPUTE_PGM_RSRC2:SCRATCH_EN: 0
; COMPUTE_PGM_RSRC2:USER_SGPR: 2
; COMPUTE_PGM_RSRC2:TRAP_HANDLER: 0
; COMPUTE_PGM_RSRC2:TGID_X_EN: 1
; COMPUTE_PGM_RSRC2:TGID_Y_EN: 0
; COMPUTE_PGM_RSRC2:TGID_Z_EN: 0
; COMPUTE_PGM_RSRC2:TIDIG_COMP_CNT: 1
; COMPUTE_PGM_RSRC3_GFX90A:ACCUM_OFFSET: 6
; COMPUTE_PGM_RSRC3_GFX90A:TG_SPLIT: 0
	.section	.text._ZN2at6native28tensor_kernel_scan_outer_dimIN3c108BFloat16EjSt10multipliesIS3_EEEvPT_PKS6_jjjS6_T1_,"axG",@progbits,_ZN2at6native28tensor_kernel_scan_outer_dimIN3c108BFloat16EjSt10multipliesIS3_EEEvPT_PKS6_jjjS6_T1_,comdat
	.protected	_ZN2at6native28tensor_kernel_scan_outer_dimIN3c108BFloat16EjSt10multipliesIS3_EEEvPT_PKS6_jjjS6_T1_ ; -- Begin function _ZN2at6native28tensor_kernel_scan_outer_dimIN3c108BFloat16EjSt10multipliesIS3_EEEvPT_PKS6_jjjS6_T1_
	.globl	_ZN2at6native28tensor_kernel_scan_outer_dimIN3c108BFloat16EjSt10multipliesIS3_EEEvPT_PKS6_jjjS6_T1_
	.p2align	8
	.type	_ZN2at6native28tensor_kernel_scan_outer_dimIN3c108BFloat16EjSt10multipliesIS3_EEEvPT_PKS6_jjjS6_T1_,@function
_ZN2at6native28tensor_kernel_scan_outer_dimIN3c108BFloat16EjSt10multipliesIS3_EEEvPT_PKS6_jjjS6_T1_: ; @_ZN2at6native28tensor_kernel_scan_outer_dimIN3c108BFloat16EjSt10multipliesIS3_EEEvPT_PKS6_jjjS6_T1_
; %bb.0:
	s_load_dwordx4 s[8:11], s[0:1], 0x10
	s_waitcnt lgkmcnt(0)
	s_cmp_ge_u32 s2, s8
	s_cbranch_scc1 .LBB97_9
; %bb.1:
	s_load_dword s4, s[0:1], 0x2c
	s_load_dwordx4 s[12:15], s[0:1], 0x0
	s_load_dword s26, s[0:1], 0x20
	s_add_u32 s6, s0, 32
	s_addc_u32 s7, s1, 0
	s_waitcnt lgkmcnt(0)
	s_and_b32 s27, s4, 0xffff
	s_mul_i32 s3, s3, s27
	s_cmp_lg_u32 s10, 0
	v_add_u32_e32 v4, s3, v0
	s_mul_i32 s3, s2, s10
	s_cselect_b64 s[4:5], -1, 0
	s_mov_b32 s17, 0
	s_mov_b32 s16, s9
	s_mul_i32 s20, s3, s9
	s_mul_i32 s3, s26, s10
	v_cndmask_b32_e64 v0, 0, 1, s[4:5]
	v_cmp_gt_u32_e64 s[0:1], s9, v4
	s_mul_i32 s3, s3, s9
	s_lshl_b64 s[18:19], s[16:17], 1
	v_cmp_ne_u32_e64 s[4:5], 1, v0
	v_mov_b32_e32 v1, 0
	s_movk_i32 s28, 0x7fff
	v_mov_b32_e32 v5, 0x7fc0
	s_mov_b32 s16, s20
	s_branch .LBB97_3
.LBB97_2:                               ;   in Loop: Header=BB97_3 Depth=1
	s_or_b64 exec, exec, s[20:21]
	s_add_i32 s2, s26, s2
	s_add_i32 s16, s16, s3
	s_cmp_ge_u32 s2, s8
	s_cbranch_scc1 .LBB97_9
.LBB97_3:                               ; =>This Loop Header: Depth=1
                                        ;     Child Loop BB97_6 Depth 2
                                        ;       Child Loop BB97_8 Depth 3
	s_and_saveexec_b64 s[20:21], s[0:1]
	s_cbranch_execz .LBB97_2
; %bb.4:                                ;   in Loop: Header=BB97_3 Depth=1
	s_load_dword s29, s[6:7], 0x4
	s_lshl_b64 s[22:23], s[16:17], 1
	s_mov_b64 s[24:25], 0
	v_mov_b32_e32 v0, v4
	s_waitcnt lgkmcnt(0)
	s_mul_i32 s29, s29, s27
	s_branch .LBB97_6
.LBB97_5:                               ;   in Loop: Header=BB97_6 Depth=2
	v_add_u32_e32 v0, s29, v0
	v_cmp_le_u32_e32 vcc, s9, v0
	s_or_b64 s[24:25], vcc, s[24:25]
	s_andn2_b64 exec, exec, s[24:25]
	s_cbranch_execz .LBB97_2
.LBB97_6:                               ;   Parent Loop BB97_3 Depth=1
                                        ; =>  This Loop Header: Depth=2
                                        ;       Child Loop BB97_8 Depth 3
	s_and_b64 vcc, exec, s[4:5]
	s_cbranch_vccnz .LBB97_5
; %bb.7:                                ;   in Loop: Header=BB97_6 Depth=2
	v_lshl_add_u64 v[2:3], v[0:1], 1, s[22:23]
	v_mov_b32_e32 v6, s11
	s_mov_b32 s30, s10
.LBB97_8:                               ;   Parent Loop BB97_3 Depth=1
                                        ;     Parent Loop BB97_6 Depth=2
                                        ; =>    This Inner Loop Header: Depth=3
	v_lshl_add_u64 v[8:9], s[14:15], 0, v[2:3]
	global_load_ushort v7, v[8:9], off
	v_lshlrev_b32_e32 v6, 16, v6
	s_add_i32 s30, s30, -1
	v_lshl_add_u64 v[8:9], s[12:13], 0, v[2:3]
	v_lshl_add_u64 v[2:3], v[2:3], 0, s[18:19]
	s_cmp_eq_u32 s30, 0
	s_waitcnt vmcnt(0)
	v_lshlrev_b32_e32 v7, 16, v7
	v_mul_f32_e32 v6, v7, v6
	v_bfe_u32 v7, v6, 16, 1
	v_add3_u32 v7, v6, v7, s28
	v_lshrrev_b32_e32 v7, 16, v7
	v_cmp_o_f32_e32 vcc, v6, v6
	s_nop 1
	v_cndmask_b32_e32 v6, v5, v7, vcc
	global_store_short v[8:9], v6, off
	s_cbranch_scc0 .LBB97_8
	s_branch .LBB97_5
.LBB97_9:
	s_endpgm
	.section	.rodata,"a",@progbits
	.p2align	6, 0x0
	.amdhsa_kernel _ZN2at6native28tensor_kernel_scan_outer_dimIN3c108BFloat16EjSt10multipliesIS3_EEEvPT_PKS6_jjjS6_T1_
		.amdhsa_group_segment_fixed_size 0
		.amdhsa_private_segment_fixed_size 0
		.amdhsa_kernarg_size 288
		.amdhsa_user_sgpr_count 2
		.amdhsa_user_sgpr_dispatch_ptr 0
		.amdhsa_user_sgpr_queue_ptr 0
		.amdhsa_user_sgpr_kernarg_segment_ptr 1
		.amdhsa_user_sgpr_dispatch_id 0
		.amdhsa_user_sgpr_kernarg_preload_length 0
		.amdhsa_user_sgpr_kernarg_preload_offset 0
		.amdhsa_user_sgpr_private_segment_size 0
		.amdhsa_uses_dynamic_stack 0
		.amdhsa_enable_private_segment 0
		.amdhsa_system_sgpr_workgroup_id_x 1
		.amdhsa_system_sgpr_workgroup_id_y 1
		.amdhsa_system_sgpr_workgroup_id_z 0
		.amdhsa_system_sgpr_workgroup_info 0
		.amdhsa_system_vgpr_workitem_id 0
		.amdhsa_next_free_vgpr 10
		.amdhsa_next_free_sgpr 31
		.amdhsa_accum_offset 12
		.amdhsa_reserve_vcc 1
		.amdhsa_float_round_mode_32 0
		.amdhsa_float_round_mode_16_64 0
		.amdhsa_float_denorm_mode_32 3
		.amdhsa_float_denorm_mode_16_64 3
		.amdhsa_dx10_clamp 1
		.amdhsa_ieee_mode 1
		.amdhsa_fp16_overflow 0
		.amdhsa_tg_split 0
		.amdhsa_exception_fp_ieee_invalid_op 0
		.amdhsa_exception_fp_denorm_src 0
		.amdhsa_exception_fp_ieee_div_zero 0
		.amdhsa_exception_fp_ieee_overflow 0
		.amdhsa_exception_fp_ieee_underflow 0
		.amdhsa_exception_fp_ieee_inexact 0
		.amdhsa_exception_int_div_zero 0
	.end_amdhsa_kernel
	.section	.text._ZN2at6native28tensor_kernel_scan_outer_dimIN3c108BFloat16EjSt10multipliesIS3_EEEvPT_PKS6_jjjS6_T1_,"axG",@progbits,_ZN2at6native28tensor_kernel_scan_outer_dimIN3c108BFloat16EjSt10multipliesIS3_EEEvPT_PKS6_jjjS6_T1_,comdat
.Lfunc_end97:
	.size	_ZN2at6native28tensor_kernel_scan_outer_dimIN3c108BFloat16EjSt10multipliesIS3_EEEvPT_PKS6_jjjS6_T1_, .Lfunc_end97-_ZN2at6native28tensor_kernel_scan_outer_dimIN3c108BFloat16EjSt10multipliesIS3_EEEvPT_PKS6_jjjS6_T1_
                                        ; -- End function
	.section	.AMDGPU.csdata,"",@progbits
; Kernel info:
; codeLenInByte = 368
; NumSgprs: 37
; NumVgprs: 10
; NumAgprs: 0
; TotalNumVgprs: 10
; ScratchSize: 0
; MemoryBound: 0
; FloatMode: 240
; IeeeMode: 1
; LDSByteSize: 0 bytes/workgroup (compile time only)
; SGPRBlocks: 4
; VGPRBlocks: 1
; NumSGPRsForWavesPerEU: 37
; NumVGPRsForWavesPerEU: 10
; AccumOffset: 12
; Occupancy: 8
; WaveLimiterHint : 0
; COMPUTE_PGM_RSRC2:SCRATCH_EN: 0
; COMPUTE_PGM_RSRC2:USER_SGPR: 2
; COMPUTE_PGM_RSRC2:TRAP_HANDLER: 0
; COMPUTE_PGM_RSRC2:TGID_X_EN: 1
; COMPUTE_PGM_RSRC2:TGID_Y_EN: 1
; COMPUTE_PGM_RSRC2:TGID_Z_EN: 0
; COMPUTE_PGM_RSRC2:TIDIG_COMP_CNT: 0
; COMPUTE_PGM_RSRC3_GFX90A:ACCUM_OFFSET: 2
; COMPUTE_PGM_RSRC3_GFX90A:TG_SPLIT: 0
	.section	.text._ZN2at6native28tensor_kernel_scan_outer_dimIN3c108BFloat16EmSt10multipliesIS3_EEEvPT_PKS6_jjjS6_T1_,"axG",@progbits,_ZN2at6native28tensor_kernel_scan_outer_dimIN3c108BFloat16EmSt10multipliesIS3_EEEvPT_PKS6_jjjS6_T1_,comdat
	.protected	_ZN2at6native28tensor_kernel_scan_outer_dimIN3c108BFloat16EmSt10multipliesIS3_EEEvPT_PKS6_jjjS6_T1_ ; -- Begin function _ZN2at6native28tensor_kernel_scan_outer_dimIN3c108BFloat16EmSt10multipliesIS3_EEEvPT_PKS6_jjjS6_T1_
	.globl	_ZN2at6native28tensor_kernel_scan_outer_dimIN3c108BFloat16EmSt10multipliesIS3_EEEvPT_PKS6_jjjS6_T1_
	.p2align	8
	.type	_ZN2at6native28tensor_kernel_scan_outer_dimIN3c108BFloat16EmSt10multipliesIS3_EEEvPT_PKS6_jjjS6_T1_,@function
_ZN2at6native28tensor_kernel_scan_outer_dimIN3c108BFloat16EmSt10multipliesIS3_EEEvPT_PKS6_jjjS6_T1_: ; @_ZN2at6native28tensor_kernel_scan_outer_dimIN3c108BFloat16EmSt10multipliesIS3_EEEvPT_PKS6_jjjS6_T1_
; %bb.0:
	s_load_dwordx4 s[8:11], s[0:1], 0x10
	s_waitcnt lgkmcnt(0)
	s_cmp_ge_u32 s2, s8
	s_cbranch_scc1 .LBB98_9
; %bb.1:
	s_load_dword s4, s[0:1], 0x2c
	s_load_dwordx4 s[12:15], s[0:1], 0x0
	s_load_dword s26, s[0:1], 0x20
	s_add_u32 s6, s0, 32
	s_addc_u32 s7, s1, 0
	s_waitcnt lgkmcnt(0)
	s_and_b32 s27, s4, 0xffff
	s_cmp_lg_u32 s10, 0
	s_mul_i32 s3, s3, s27
	s_cselect_b64 s[20:21], -1, 0
	v_add_u32_e32 v4, s3, v0
	s_mov_b32 s5, 0
	s_mov_b32 s4, s9
	s_mul_hi_u32 s17, s10, s9
	s_mul_i32 s16, s10, s9
	v_cndmask_b32_e64 v0, 0, 1, s[20:21]
	v_cmp_gt_u32_e64 s[0:1], s9, v4
	s_lshl_b64 s[16:17], s[16:17], 1
	s_lshl_b64 s[18:19], s[4:5], 1
	v_cmp_ne_u32_e64 s[4:5], 1, v0
	v_mov_b32_e32 v1, 0
	s_movk_i32 s3, 0x7fff
	v_mov_b32_e32 v5, 0x7fc0
	s_branch .LBB98_3
.LBB98_2:                               ;   in Loop: Header=BB98_3 Depth=1
	s_or_b64 exec, exec, s[20:21]
	s_add_i32 s2, s2, s26
	s_cmp_ge_u32 s2, s8
	s_cbranch_scc1 .LBB98_9
.LBB98_3:                               ; =>This Loop Header: Depth=1
                                        ;     Child Loop BB98_6 Depth 2
                                        ;       Child Loop BB98_8 Depth 3
	s_and_saveexec_b64 s[20:21], s[0:1]
	s_cbranch_execz .LBB98_2
; %bb.4:                                ;   in Loop: Header=BB98_3 Depth=1
	s_load_dword s28, s[6:7], 0x4
	s_mul_i32 s23, s17, s2
	s_mul_hi_u32 s24, s16, s2
	s_mul_i32 s22, s16, s2
	s_add_i32 s23, s24, s23
	s_waitcnt lgkmcnt(0)
	s_mul_i32 s28, s28, s27
	s_mov_b64 s[24:25], 0
	v_mov_b32_e32 v0, v4
	s_branch .LBB98_6
.LBB98_5:                               ;   in Loop: Header=BB98_6 Depth=2
	v_add_u32_e32 v0, s28, v0
	v_cmp_le_u32_e32 vcc, s9, v0
	s_or_b64 s[24:25], vcc, s[24:25]
	s_andn2_b64 exec, exec, s[24:25]
	s_cbranch_execz .LBB98_2
.LBB98_6:                               ;   Parent Loop BB98_3 Depth=1
                                        ; =>  This Loop Header: Depth=2
                                        ;       Child Loop BB98_8 Depth 3
	s_and_b64 vcc, exec, s[4:5]
	s_cbranch_vccnz .LBB98_5
; %bb.7:                                ;   in Loop: Header=BB98_6 Depth=2
	v_lshl_add_u64 v[2:3], v[0:1], 1, s[22:23]
	v_mov_b32_e32 v6, s11
	s_mov_b32 s29, s10
.LBB98_8:                               ;   Parent Loop BB98_3 Depth=1
                                        ;     Parent Loop BB98_6 Depth=2
                                        ; =>    This Inner Loop Header: Depth=3
	v_lshl_add_u64 v[8:9], s[14:15], 0, v[2:3]
	global_load_ushort v7, v[8:9], off
	v_lshlrev_b32_e32 v6, 16, v6
	s_add_i32 s29, s29, -1
	v_lshl_add_u64 v[8:9], s[12:13], 0, v[2:3]
	v_lshl_add_u64 v[2:3], v[2:3], 0, s[18:19]
	s_cmp_eq_u32 s29, 0
	s_waitcnt vmcnt(0)
	v_lshlrev_b32_e32 v7, 16, v7
	v_mul_f32_e32 v6, v7, v6
	v_bfe_u32 v7, v6, 16, 1
	v_add3_u32 v7, v6, v7, s3
	v_lshrrev_b32_e32 v7, 16, v7
	v_cmp_o_f32_e32 vcc, v6, v6
	s_nop 1
	v_cndmask_b32_e32 v6, v5, v7, vcc
	global_store_short v[8:9], v6, off
	s_cbranch_scc0 .LBB98_8
	s_branch .LBB98_5
.LBB98_9:
	s_endpgm
	.section	.rodata,"a",@progbits
	.p2align	6, 0x0
	.amdhsa_kernel _ZN2at6native28tensor_kernel_scan_outer_dimIN3c108BFloat16EmSt10multipliesIS3_EEEvPT_PKS6_jjjS6_T1_
		.amdhsa_group_segment_fixed_size 0
		.amdhsa_private_segment_fixed_size 0
		.amdhsa_kernarg_size 288
		.amdhsa_user_sgpr_count 2
		.amdhsa_user_sgpr_dispatch_ptr 0
		.amdhsa_user_sgpr_queue_ptr 0
		.amdhsa_user_sgpr_kernarg_segment_ptr 1
		.amdhsa_user_sgpr_dispatch_id 0
		.amdhsa_user_sgpr_kernarg_preload_length 0
		.amdhsa_user_sgpr_kernarg_preload_offset 0
		.amdhsa_user_sgpr_private_segment_size 0
		.amdhsa_uses_dynamic_stack 0
		.amdhsa_enable_private_segment 0
		.amdhsa_system_sgpr_workgroup_id_x 1
		.amdhsa_system_sgpr_workgroup_id_y 1
		.amdhsa_system_sgpr_workgroup_id_z 0
		.amdhsa_system_sgpr_workgroup_info 0
		.amdhsa_system_vgpr_workitem_id 0
		.amdhsa_next_free_vgpr 10
		.amdhsa_next_free_sgpr 30
		.amdhsa_accum_offset 12
		.amdhsa_reserve_vcc 1
		.amdhsa_float_round_mode_32 0
		.amdhsa_float_round_mode_16_64 0
		.amdhsa_float_denorm_mode_32 3
		.amdhsa_float_denorm_mode_16_64 3
		.amdhsa_dx10_clamp 1
		.amdhsa_ieee_mode 1
		.amdhsa_fp16_overflow 0
		.amdhsa_tg_split 0
		.amdhsa_exception_fp_ieee_invalid_op 0
		.amdhsa_exception_fp_denorm_src 0
		.amdhsa_exception_fp_ieee_div_zero 0
		.amdhsa_exception_fp_ieee_overflow 0
		.amdhsa_exception_fp_ieee_underflow 0
		.amdhsa_exception_fp_ieee_inexact 0
		.amdhsa_exception_int_div_zero 0
	.end_amdhsa_kernel
	.section	.text._ZN2at6native28tensor_kernel_scan_outer_dimIN3c108BFloat16EmSt10multipliesIS3_EEEvPT_PKS6_jjjS6_T1_,"axG",@progbits,_ZN2at6native28tensor_kernel_scan_outer_dimIN3c108BFloat16EmSt10multipliesIS3_EEEvPT_PKS6_jjjS6_T1_,comdat
.Lfunc_end98:
	.size	_ZN2at6native28tensor_kernel_scan_outer_dimIN3c108BFloat16EmSt10multipliesIS3_EEEvPT_PKS6_jjjS6_T1_, .Lfunc_end98-_ZN2at6native28tensor_kernel_scan_outer_dimIN3c108BFloat16EmSt10multipliesIS3_EEEvPT_PKS6_jjjS6_T1_
                                        ; -- End function
	.section	.AMDGPU.csdata,"",@progbits
; Kernel info:
; codeLenInByte = 368
; NumSgprs: 36
; NumVgprs: 10
; NumAgprs: 0
; TotalNumVgprs: 10
; ScratchSize: 0
; MemoryBound: 0
; FloatMode: 240
; IeeeMode: 1
; LDSByteSize: 0 bytes/workgroup (compile time only)
; SGPRBlocks: 4
; VGPRBlocks: 1
; NumSGPRsForWavesPerEU: 36
; NumVGPRsForWavesPerEU: 10
; AccumOffset: 12
; Occupancy: 8
; WaveLimiterHint : 0
; COMPUTE_PGM_RSRC2:SCRATCH_EN: 0
; COMPUTE_PGM_RSRC2:USER_SGPR: 2
; COMPUTE_PGM_RSRC2:TRAP_HANDLER: 0
; COMPUTE_PGM_RSRC2:TGID_X_EN: 1
; COMPUTE_PGM_RSRC2:TGID_Y_EN: 1
; COMPUTE_PGM_RSRC2:TGID_Z_EN: 0
; COMPUTE_PGM_RSRC2:TIDIG_COMP_CNT: 0
; COMPUTE_PGM_RSRC3_GFX90A:ACCUM_OFFSET: 2
; COMPUTE_PGM_RSRC3_GFX90A:TG_SPLIT: 0
	.text
	.p2alignl 6, 3212836864
	.fill 256, 4, 3212836864
	.type	__hip_cuid_3525fcb64a8e9e36,@object ; @__hip_cuid_3525fcb64a8e9e36
	.section	.bss,"aw",@nobits
	.globl	__hip_cuid_3525fcb64a8e9e36
__hip_cuid_3525fcb64a8e9e36:
	.byte	0                               ; 0x0
	.size	__hip_cuid_3525fcb64a8e9e36, 1

	.ident	"AMD clang version 19.0.0git (https://github.com/RadeonOpenCompute/llvm-project roc-6.4.0 25133 c7fe45cf4b819c5991fe208aaa96edf142730f1d)"
	.section	".note.GNU-stack","",@progbits
	.addrsig
	.addrsig_sym __hip_cuid_3525fcb64a8e9e36
	.amdgpu_metadata
---
amdhsa.kernels:
  - .agpr_count:     0
    .args:
      - .address_space:  global
        .offset:         0
        .size:           8
        .value_kind:     global_buffer
      - .offset:         8
        .size:           4
        .value_kind:     by_value
      - .offset:         12
        .size:           4
        .value_kind:     by_value
      - .address_space:  global
        .offset:         16
        .size:           8
        .value_kind:     global_buffer
      - .offset:         24
        .size:           4
        .value_kind:     hidden_block_count_x
      - .offset:         28
        .size:           4
        .value_kind:     hidden_block_count_y
      - .offset:         32
        .size:           4
        .value_kind:     hidden_block_count_z
      - .offset:         36
        .size:           2
        .value_kind:     hidden_group_size_x
      - .offset:         38
        .size:           2
        .value_kind:     hidden_group_size_y
      - .offset:         40
        .size:           2
        .value_kind:     hidden_group_size_z
      - .offset:         42
        .size:           2
        .value_kind:     hidden_remainder_x
      - .offset:         44
        .size:           2
        .value_kind:     hidden_remainder_y
      - .offset:         46
        .size:           2
        .value_kind:     hidden_remainder_z
      - .offset:         64
        .size:           8
        .value_kind:     hidden_global_offset_x
      - .offset:         72
        .size:           8
        .value_kind:     hidden_global_offset_y
      - .offset:         80
        .size:           8
        .value_kind:     hidden_global_offset_z
      - .offset:         88
        .size:           2
        .value_kind:     hidden_grid_dims
    .group_segment_fixed_size: 0
    .kernarg_segment_align: 8
    .kernarg_segment_size: 280
    .language:       OpenCL C
    .language_version:
      - 2
      - 0
    .max_flat_workgroup_size: 256
    .name:           _ZN7rocprim17ROCPRIM_304000_NS6detail31init_lookback_scan_state_kernelINS1_19lookback_scan_stateIhLb1ELb1EEEEEvT_jjPNS5_10value_typeE
    .private_segment_fixed_size: 0
    .sgpr_count:     20
    .sgpr_spill_count: 0
    .symbol:         _ZN7rocprim17ROCPRIM_304000_NS6detail31init_lookback_scan_state_kernelINS1_19lookback_scan_stateIhLb1ELb1EEEEEvT_jjPNS5_10value_typeE.kd
    .uniform_work_group_size: 1
    .uses_dynamic_stack: false
    .vgpr_count:     6
    .vgpr_spill_count: 0
    .wavefront_size: 64
  - .agpr_count:     0
    .args:
      - .address_space:  global
        .offset:         0
        .size:           8
        .value_kind:     global_buffer
      - .offset:         8
        .size:           4
        .value_kind:     by_value
      - .offset:         12
        .size:           4
        .value_kind:     by_value
      - .address_space:  global
        .offset:         16
        .size:           8
        .value_kind:     global_buffer
      - .offset:         24
        .size:           4
        .value_kind:     hidden_block_count_x
      - .offset:         28
        .size:           4
        .value_kind:     hidden_block_count_y
      - .offset:         32
        .size:           4
        .value_kind:     hidden_block_count_z
      - .offset:         36
        .size:           2
        .value_kind:     hidden_group_size_x
      - .offset:         38
        .size:           2
        .value_kind:     hidden_group_size_y
      - .offset:         40
        .size:           2
        .value_kind:     hidden_group_size_z
      - .offset:         42
        .size:           2
        .value_kind:     hidden_remainder_x
      - .offset:         44
        .size:           2
        .value_kind:     hidden_remainder_y
      - .offset:         46
        .size:           2
        .value_kind:     hidden_remainder_z
      - .offset:         64
        .size:           8
        .value_kind:     hidden_global_offset_x
      - .offset:         72
        .size:           8
        .value_kind:     hidden_global_offset_y
      - .offset:         80
        .size:           8
        .value_kind:     hidden_global_offset_z
      - .offset:         88
        .size:           2
        .value_kind:     hidden_grid_dims
    .group_segment_fixed_size: 0
    .kernarg_segment_align: 8
    .kernarg_segment_size: 280
    .language:       OpenCL C
    .language_version:
      - 2
      - 0
    .max_flat_workgroup_size: 256
    .name:           _ZN7rocprim17ROCPRIM_304000_NS6detail31init_lookback_scan_state_kernelINS1_19lookback_scan_stateIhLb0ELb1EEEEEvT_jjPNS5_10value_typeE
    .private_segment_fixed_size: 0
    .sgpr_count:     16
    .sgpr_spill_count: 0
    .symbol:         _ZN7rocprim17ROCPRIM_304000_NS6detail31init_lookback_scan_state_kernelINS1_19lookback_scan_stateIhLb0ELb1EEEEEvT_jjPNS5_10value_typeE.kd
    .uniform_work_group_size: 1
    .uses_dynamic_stack: false
    .vgpr_count:     6
    .vgpr_spill_count: 0
    .wavefront_size: 64
  - .agpr_count:     0
    .args:
      - .address_space:  global
        .offset:         0
        .size:           8
        .value_kind:     global_buffer
      - .address_space:  global
        .offset:         8
        .size:           8
        .value_kind:     global_buffer
      - .offset:         16
        .size:           8
        .value_kind:     by_value
      - .offset:         24
        .size:           1
        .value_kind:     by_value
      - .offset:         25
        .size:           1
        .value_kind:     by_value
      - .address_space:  global
        .offset:         32
        .size:           8
        .value_kind:     global_buffer
      - .offset:         40
        .size:           4
        .value_kind:     by_value
      - .address_space:  global
        .offset:         48
        .size:           8
        .value_kind:     global_buffer
      - .address_space:  global
        .offset:         56
        .size:           8
        .value_kind:     global_buffer
      - .offset:         64
        .size:           1
        .value_kind:     by_value
      - .offset:         65
        .size:           1
        .value_kind:     by_value
    .group_segment_fixed_size: 0
    .kernarg_segment_align: 8
    .kernarg_segment_size: 68
    .language:       OpenCL C
    .language_version:
      - 2
      - 0
    .max_flat_workgroup_size: 256
    .name:           _ZN7rocprim17ROCPRIM_304000_NS6detail20lookback_scan_kernelILNS1_25lookback_scan_determinismE0ELb0ENS1_19wrapped_scan_configINS0_14default_configEhEEPKhPhSt10multipliesIhEhhNS1_19lookback_scan_stateIhLb1ELb1EEEEEvT2_T3_mT5_T4_T7_jPT6_SK_bb
    .private_segment_fixed_size: 0
    .sgpr_count:     6
    .sgpr_spill_count: 0
    .symbol:         _ZN7rocprim17ROCPRIM_304000_NS6detail20lookback_scan_kernelILNS1_25lookback_scan_determinismE0ELb0ENS1_19wrapped_scan_configINS0_14default_configEhEEPKhPhSt10multipliesIhEhhNS1_19lookback_scan_stateIhLb1ELb1EEEEEvT2_T3_mT5_T4_T7_jPT6_SK_bb.kd
    .uniform_work_group_size: 1
    .uses_dynamic_stack: false
    .vgpr_count:     0
    .vgpr_spill_count: 0
    .wavefront_size: 64
  - .agpr_count:     0
    .args:
      - .address_space:  global
        .offset:         0
        .size:           8
        .value_kind:     global_buffer
      - .address_space:  global
        .offset:         8
        .size:           8
        .value_kind:     global_buffer
      - .offset:         16
        .size:           8
        .value_kind:     by_value
      - .offset:         24
        .size:           1
        .value_kind:     by_value
      - .offset:         25
        .size:           1
        .value_kind:     by_value
      - .address_space:  global
        .offset:         32
        .size:           8
        .value_kind:     global_buffer
      - .offset:         40
        .size:           4
        .value_kind:     by_value
      - .address_space:  global
        .offset:         48
        .size:           8
        .value_kind:     global_buffer
      - .address_space:  global
        .offset:         56
        .size:           8
        .value_kind:     global_buffer
      - .offset:         64
        .size:           1
        .value_kind:     by_value
      - .offset:         65
        .size:           1
        .value_kind:     by_value
    .group_segment_fixed_size: 6144
    .kernarg_segment_align: 8
    .kernarg_segment_size: 68
    .language:       OpenCL C
    .language_version:
      - 2
      - 0
    .max_flat_workgroup_size: 256
    .name:           _ZN7rocprim17ROCPRIM_304000_NS6detail20lookback_scan_kernelILNS1_25lookback_scan_determinismE0ELb0ENS1_19wrapped_scan_configINS0_14default_configEhEEPKhPhSt10multipliesIhEhhNS1_19lookback_scan_stateIhLb0ELb1EEEEEvT2_T3_mT5_T4_T7_jPT6_SK_bb
    .private_segment_fixed_size: 0
    .sgpr_count:     32
    .sgpr_spill_count: 0
    .symbol:         _ZN7rocprim17ROCPRIM_304000_NS6detail20lookback_scan_kernelILNS1_25lookback_scan_determinismE0ELb0ENS1_19wrapped_scan_configINS0_14default_configEhEEPKhPhSt10multipliesIhEhhNS1_19lookback_scan_stateIhLb0ELb1EEEEEvT2_T3_mT5_T4_T7_jPT6_SK_bb.kd
    .uniform_work_group_size: 1
    .uses_dynamic_stack: false
    .vgpr_count:     53
    .vgpr_spill_count: 0
    .wavefront_size: 64
  - .agpr_count:     0
    .args:
      - .address_space:  global
        .offset:         0
        .size:           8
        .value_kind:     global_buffer
      - .offset:         8
        .size:           8
        .value_kind:     by_value
      - .address_space:  global
        .offset:         16
        .size:           8
        .value_kind:     global_buffer
      - .offset:         24
        .size:           1
        .value_kind:     by_value
      - .offset:         32
        .size:           4
        .value_kind:     hidden_block_count_x
      - .offset:         36
        .size:           4
        .value_kind:     hidden_block_count_y
      - .offset:         40
        .size:           4
        .value_kind:     hidden_block_count_z
      - .offset:         44
        .size:           2
        .value_kind:     hidden_group_size_x
      - .offset:         46
        .size:           2
        .value_kind:     hidden_group_size_y
      - .offset:         48
        .size:           2
        .value_kind:     hidden_group_size_z
      - .offset:         50
        .size:           2
        .value_kind:     hidden_remainder_x
      - .offset:         52
        .size:           2
        .value_kind:     hidden_remainder_y
      - .offset:         54
        .size:           2
        .value_kind:     hidden_remainder_z
      - .offset:         72
        .size:           8
        .value_kind:     hidden_global_offset_x
      - .offset:         80
        .size:           8
        .value_kind:     hidden_global_offset_y
      - .offset:         88
        .size:           8
        .value_kind:     hidden_global_offset_z
      - .offset:         96
        .size:           2
        .value_kind:     hidden_grid_dims
    .group_segment_fixed_size: 0
    .kernarg_segment_align: 8
    .kernarg_segment_size: 288
    .language:       OpenCL C
    .language_version:
      - 2
      - 0
    .max_flat_workgroup_size: 256
    .name:           _ZN7rocprim17ROCPRIM_304000_NS6detail16transform_kernelINS1_24wrapped_transform_configINS0_14default_configEhEEhPhS6_NS0_8identityIhEEEEvT1_mT2_T3_
    .private_segment_fixed_size: 0
    .sgpr_count:     44
    .sgpr_spill_count: 0
    .symbol:         _ZN7rocprim17ROCPRIM_304000_NS6detail16transform_kernelINS1_24wrapped_transform_configINS0_14default_configEhEEhPhS6_NS0_8identityIhEEEEvT1_mT2_T3_.kd
    .uniform_work_group_size: 1
    .uses_dynamic_stack: false
    .vgpr_count:     22
    .vgpr_spill_count: 0
    .wavefront_size: 64
  - .agpr_count:     0
    .args:
      - .address_space:  global
        .offset:         0
        .size:           8
        .value_kind:     global_buffer
      - .offset:         8
        .size:           8
        .value_kind:     by_value
      - .offset:         16
        .size:           1
        .value_kind:     by_value
      - .address_space:  global
        .offset:         24
        .size:           8
        .value_kind:     global_buffer
      - .offset:         32
        .size:           1
        .value_kind:     by_value
    .group_segment_fixed_size: 6144
    .kernarg_segment_align: 8
    .kernarg_segment_size: 36
    .language:       OpenCL C
    .language_version:
      - 2
      - 0
    .max_flat_workgroup_size: 256
    .name:           _ZN7rocprim17ROCPRIM_304000_NS6detail18single_scan_kernelILb0ENS1_19wrapped_scan_configINS0_14default_configEhEEPKhPhSt10multipliesIhEhhEEvT1_mT4_T2_T3_
    .private_segment_fixed_size: 0
    .sgpr_count:     60
    .sgpr_spill_count: 0
    .symbol:         _ZN7rocprim17ROCPRIM_304000_NS6detail18single_scan_kernelILb0ENS1_19wrapped_scan_configINS0_14default_configEhEEPKhPhSt10multipliesIhEhhEEvT1_mT4_T2_T3_.kd
    .uniform_work_group_size: 1
    .uses_dynamic_stack: false
    .vgpr_count:     30
    .vgpr_spill_count: 0
    .wavefront_size: 64
  - .agpr_count:     0
    .args:
      - .address_space:  global
        .offset:         0
        .size:           8
        .value_kind:     global_buffer
      - .address_space:  global
        .offset:         8
        .size:           8
        .value_kind:     global_buffer
      - .offset:         16
        .size:           4
        .value_kind:     by_value
      - .offset:         20
        .size:           4
        .value_kind:     by_value
      - .offset:         24
        .size:           4
        .value_kind:     by_value
      - .offset:         28
        .size:           1
        .value_kind:     by_value
      - .offset:         29
        .size:           1
        .value_kind:     by_value
      - .offset:         32
        .size:           4
        .value_kind:     hidden_block_count_x
      - .offset:         36
        .size:           4
        .value_kind:     hidden_block_count_y
      - .offset:         40
        .size:           4
        .value_kind:     hidden_block_count_z
      - .offset:         44
        .size:           2
        .value_kind:     hidden_group_size_x
      - .offset:         46
        .size:           2
        .value_kind:     hidden_group_size_y
      - .offset:         48
        .size:           2
        .value_kind:     hidden_group_size_z
      - .offset:         50
        .size:           2
        .value_kind:     hidden_remainder_x
      - .offset:         52
        .size:           2
        .value_kind:     hidden_remainder_y
      - .offset:         54
        .size:           2
        .value_kind:     hidden_remainder_z
      - .offset:         72
        .size:           8
        .value_kind:     hidden_global_offset_x
      - .offset:         80
        .size:           8
        .value_kind:     hidden_global_offset_y
      - .offset:         88
        .size:           8
        .value_kind:     hidden_global_offset_z
      - .offset:         96
        .size:           2
        .value_kind:     hidden_grid_dims
      - .offset:         152
        .size:           4
        .value_kind:     hidden_dynamic_lds_size
    .group_segment_fixed_size: 0
    .kernarg_segment_align: 8
    .kernarg_segment_size: 288
    .language:       OpenCL C
    .language_version:
      - 2
      - 0
    .max_flat_workgroup_size: 1024
    .name:           _ZN2at6native32tensor_kernel_scan_innermost_dimIhSt10multipliesIhEEEvPT_PKS4_jjjS4_T0_
    .private_segment_fixed_size: 0
    .sgpr_count:     40
    .sgpr_spill_count: 0
    .symbol:         _ZN2at6native32tensor_kernel_scan_innermost_dimIhSt10multipliesIhEEEvPT_PKS4_jjjS4_T0_.kd
    .uniform_work_group_size: 1
    .uses_dynamic_stack: false
    .vgpr_count:     26
    .vgpr_spill_count: 0
    .wavefront_size: 64
  - .agpr_count:     0
    .args:
      - .address_space:  global
        .offset:         0
        .size:           8
        .value_kind:     global_buffer
      - .address_space:  global
        .offset:         8
        .size:           8
        .value_kind:     global_buffer
      - .offset:         16
        .size:           4
        .value_kind:     by_value
      - .offset:         20
        .size:           4
        .value_kind:     by_value
      - .offset:         24
        .size:           4
        .value_kind:     by_value
      - .offset:         28
        .size:           1
        .value_kind:     by_value
      - .offset:         29
        .size:           1
        .value_kind:     by_value
      - .offset:         32
        .size:           4
        .value_kind:     hidden_block_count_x
      - .offset:         36
        .size:           4
        .value_kind:     hidden_block_count_y
      - .offset:         40
        .size:           4
        .value_kind:     hidden_block_count_z
      - .offset:         44
        .size:           2
        .value_kind:     hidden_group_size_x
      - .offset:         46
        .size:           2
        .value_kind:     hidden_group_size_y
      - .offset:         48
        .size:           2
        .value_kind:     hidden_group_size_z
      - .offset:         50
        .size:           2
        .value_kind:     hidden_remainder_x
      - .offset:         52
        .size:           2
        .value_kind:     hidden_remainder_y
      - .offset:         54
        .size:           2
        .value_kind:     hidden_remainder_z
      - .offset:         72
        .size:           8
        .value_kind:     hidden_global_offset_x
      - .offset:         80
        .size:           8
        .value_kind:     hidden_global_offset_y
      - .offset:         88
        .size:           8
        .value_kind:     hidden_global_offset_z
      - .offset:         96
        .size:           2
        .value_kind:     hidden_grid_dims
    .group_segment_fixed_size: 0
    .kernarg_segment_align: 8
    .kernarg_segment_size: 288
    .language:       OpenCL C
    .language_version:
      - 2
      - 0
    .max_flat_workgroup_size: 1024
    .name:           _ZN2at6native28tensor_kernel_scan_outer_dimIhjSt10multipliesIhEEEvPT_PKS4_jjjS4_T1_
    .private_segment_fixed_size: 0
    .sgpr_count:     34
    .sgpr_spill_count: 0
    .symbol:         _ZN2at6native28tensor_kernel_scan_outer_dimIhjSt10multipliesIhEEEvPT_PKS4_jjjS4_T1_.kd
    .uniform_work_group_size: 1
    .uses_dynamic_stack: false
    .vgpr_count:     9
    .vgpr_spill_count: 0
    .wavefront_size: 64
  - .agpr_count:     0
    .args:
      - .address_space:  global
        .offset:         0
        .size:           8
        .value_kind:     global_buffer
      - .address_space:  global
        .offset:         8
        .size:           8
        .value_kind:     global_buffer
      - .offset:         16
        .size:           4
        .value_kind:     by_value
      - .offset:         20
        .size:           4
        .value_kind:     by_value
      - .offset:         24
        .size:           4
        .value_kind:     by_value
      - .offset:         28
        .size:           1
        .value_kind:     by_value
      - .offset:         29
        .size:           1
        .value_kind:     by_value
      - .offset:         32
        .size:           4
        .value_kind:     hidden_block_count_x
      - .offset:         36
        .size:           4
        .value_kind:     hidden_block_count_y
      - .offset:         40
        .size:           4
        .value_kind:     hidden_block_count_z
      - .offset:         44
        .size:           2
        .value_kind:     hidden_group_size_x
      - .offset:         46
        .size:           2
        .value_kind:     hidden_group_size_y
      - .offset:         48
        .size:           2
        .value_kind:     hidden_group_size_z
      - .offset:         50
        .size:           2
        .value_kind:     hidden_remainder_x
      - .offset:         52
        .size:           2
        .value_kind:     hidden_remainder_y
      - .offset:         54
        .size:           2
        .value_kind:     hidden_remainder_z
      - .offset:         72
        .size:           8
        .value_kind:     hidden_global_offset_x
      - .offset:         80
        .size:           8
        .value_kind:     hidden_global_offset_y
      - .offset:         88
        .size:           8
        .value_kind:     hidden_global_offset_z
      - .offset:         96
        .size:           2
        .value_kind:     hidden_grid_dims
    .group_segment_fixed_size: 0
    .kernarg_segment_align: 8
    .kernarg_segment_size: 288
    .language:       OpenCL C
    .language_version:
      - 2
      - 0
    .max_flat_workgroup_size: 1024
    .name:           _ZN2at6native28tensor_kernel_scan_outer_dimIhmSt10multipliesIhEEEvPT_PKS4_jjjS4_T1_
    .private_segment_fixed_size: 0
    .sgpr_count:     35
    .sgpr_spill_count: 0
    .symbol:         _ZN2at6native28tensor_kernel_scan_outer_dimIhmSt10multipliesIhEEEvPT_PKS4_jjjS4_T1_.kd
    .uniform_work_group_size: 1
    .uses_dynamic_stack: false
    .vgpr_count:     9
    .vgpr_spill_count: 0
    .wavefront_size: 64
  - .agpr_count:     0
    .args:
      - .address_space:  global
        .offset:         0
        .size:           8
        .value_kind:     global_buffer
      - .offset:         8
        .size:           4
        .value_kind:     by_value
      - .offset:         12
        .size:           4
        .value_kind:     by_value
      - .address_space:  global
        .offset:         16
        .size:           8
        .value_kind:     global_buffer
      - .offset:         24
        .size:           4
        .value_kind:     hidden_block_count_x
      - .offset:         28
        .size:           4
        .value_kind:     hidden_block_count_y
      - .offset:         32
        .size:           4
        .value_kind:     hidden_block_count_z
      - .offset:         36
        .size:           2
        .value_kind:     hidden_group_size_x
      - .offset:         38
        .size:           2
        .value_kind:     hidden_group_size_y
      - .offset:         40
        .size:           2
        .value_kind:     hidden_group_size_z
      - .offset:         42
        .size:           2
        .value_kind:     hidden_remainder_x
      - .offset:         44
        .size:           2
        .value_kind:     hidden_remainder_y
      - .offset:         46
        .size:           2
        .value_kind:     hidden_remainder_z
      - .offset:         64
        .size:           8
        .value_kind:     hidden_global_offset_x
      - .offset:         72
        .size:           8
        .value_kind:     hidden_global_offset_y
      - .offset:         80
        .size:           8
        .value_kind:     hidden_global_offset_z
      - .offset:         88
        .size:           2
        .value_kind:     hidden_grid_dims
    .group_segment_fixed_size: 0
    .kernarg_segment_align: 8
    .kernarg_segment_size: 280
    .language:       OpenCL C
    .language_version:
      - 2
      - 0
    .max_flat_workgroup_size: 256
    .name:           _ZN7rocprim17ROCPRIM_304000_NS6detail31init_lookback_scan_state_kernelINS1_19lookback_scan_stateIaLb1ELb1EEEEEvT_jjPNS5_10value_typeE
    .private_segment_fixed_size: 0
    .sgpr_count:     20
    .sgpr_spill_count: 0
    .symbol:         _ZN7rocprim17ROCPRIM_304000_NS6detail31init_lookback_scan_state_kernelINS1_19lookback_scan_stateIaLb1ELb1EEEEEvT_jjPNS5_10value_typeE.kd
    .uniform_work_group_size: 1
    .uses_dynamic_stack: false
    .vgpr_count:     6
    .vgpr_spill_count: 0
    .wavefront_size: 64
  - .agpr_count:     0
    .args:
      - .address_space:  global
        .offset:         0
        .size:           8
        .value_kind:     global_buffer
      - .offset:         8
        .size:           4
        .value_kind:     by_value
      - .offset:         12
        .size:           4
        .value_kind:     by_value
      - .address_space:  global
        .offset:         16
        .size:           8
        .value_kind:     global_buffer
      - .offset:         24
        .size:           4
        .value_kind:     hidden_block_count_x
      - .offset:         28
        .size:           4
        .value_kind:     hidden_block_count_y
      - .offset:         32
        .size:           4
        .value_kind:     hidden_block_count_z
      - .offset:         36
        .size:           2
        .value_kind:     hidden_group_size_x
      - .offset:         38
        .size:           2
        .value_kind:     hidden_group_size_y
      - .offset:         40
        .size:           2
        .value_kind:     hidden_group_size_z
      - .offset:         42
        .size:           2
        .value_kind:     hidden_remainder_x
      - .offset:         44
        .size:           2
        .value_kind:     hidden_remainder_y
      - .offset:         46
        .size:           2
        .value_kind:     hidden_remainder_z
      - .offset:         64
        .size:           8
        .value_kind:     hidden_global_offset_x
      - .offset:         72
        .size:           8
        .value_kind:     hidden_global_offset_y
      - .offset:         80
        .size:           8
        .value_kind:     hidden_global_offset_z
      - .offset:         88
        .size:           2
        .value_kind:     hidden_grid_dims
    .group_segment_fixed_size: 0
    .kernarg_segment_align: 8
    .kernarg_segment_size: 280
    .language:       OpenCL C
    .language_version:
      - 2
      - 0
    .max_flat_workgroup_size: 256
    .name:           _ZN7rocprim17ROCPRIM_304000_NS6detail31init_lookback_scan_state_kernelINS1_19lookback_scan_stateIaLb0ELb1EEEEEvT_jjPNS5_10value_typeE
    .private_segment_fixed_size: 0
    .sgpr_count:     16
    .sgpr_spill_count: 0
    .symbol:         _ZN7rocprim17ROCPRIM_304000_NS6detail31init_lookback_scan_state_kernelINS1_19lookback_scan_stateIaLb0ELb1EEEEEvT_jjPNS5_10value_typeE.kd
    .uniform_work_group_size: 1
    .uses_dynamic_stack: false
    .vgpr_count:     6
    .vgpr_spill_count: 0
    .wavefront_size: 64
  - .agpr_count:     0
    .args:
      - .address_space:  global
        .offset:         0
        .size:           8
        .value_kind:     global_buffer
      - .address_space:  global
        .offset:         8
        .size:           8
        .value_kind:     global_buffer
      - .offset:         16
        .size:           8
        .value_kind:     by_value
      - .offset:         24
        .size:           1
        .value_kind:     by_value
      - .offset:         25
        .size:           1
        .value_kind:     by_value
      - .address_space:  global
        .offset:         32
        .size:           8
        .value_kind:     global_buffer
      - .offset:         40
        .size:           4
        .value_kind:     by_value
      - .address_space:  global
        .offset:         48
        .size:           8
        .value_kind:     global_buffer
      - .address_space:  global
        .offset:         56
        .size:           8
        .value_kind:     global_buffer
      - .offset:         64
        .size:           1
        .value_kind:     by_value
      - .offset:         65
        .size:           1
        .value_kind:     by_value
    .group_segment_fixed_size: 0
    .kernarg_segment_align: 8
    .kernarg_segment_size: 68
    .language:       OpenCL C
    .language_version:
      - 2
      - 0
    .max_flat_workgroup_size: 256
    .name:           _ZN7rocprim17ROCPRIM_304000_NS6detail20lookback_scan_kernelILNS1_25lookback_scan_determinismE0ELb0ENS1_19wrapped_scan_configINS0_14default_configEaEEPKaPaSt10multipliesIaEaaNS1_19lookback_scan_stateIaLb1ELb1EEEEEvT2_T3_mT5_T4_T7_jPT6_SK_bb
    .private_segment_fixed_size: 0
    .sgpr_count:     6
    .sgpr_spill_count: 0
    .symbol:         _ZN7rocprim17ROCPRIM_304000_NS6detail20lookback_scan_kernelILNS1_25lookback_scan_determinismE0ELb0ENS1_19wrapped_scan_configINS0_14default_configEaEEPKaPaSt10multipliesIaEaaNS1_19lookback_scan_stateIaLb1ELb1EEEEEvT2_T3_mT5_T4_T7_jPT6_SK_bb.kd
    .uniform_work_group_size: 1
    .uses_dynamic_stack: false
    .vgpr_count:     0
    .vgpr_spill_count: 0
    .wavefront_size: 64
  - .agpr_count:     0
    .args:
      - .address_space:  global
        .offset:         0
        .size:           8
        .value_kind:     global_buffer
      - .address_space:  global
        .offset:         8
        .size:           8
        .value_kind:     global_buffer
      - .offset:         16
        .size:           8
        .value_kind:     by_value
      - .offset:         24
        .size:           1
        .value_kind:     by_value
      - .offset:         25
        .size:           1
        .value_kind:     by_value
      - .address_space:  global
        .offset:         32
        .size:           8
        .value_kind:     global_buffer
      - .offset:         40
        .size:           4
        .value_kind:     by_value
      - .address_space:  global
        .offset:         48
        .size:           8
        .value_kind:     global_buffer
      - .address_space:  global
        .offset:         56
        .size:           8
        .value_kind:     global_buffer
      - .offset:         64
        .size:           1
        .value_kind:     by_value
      - .offset:         65
        .size:           1
        .value_kind:     by_value
    .group_segment_fixed_size: 6144
    .kernarg_segment_align: 8
    .kernarg_segment_size: 68
    .language:       OpenCL C
    .language_version:
      - 2
      - 0
    .max_flat_workgroup_size: 256
    .name:           _ZN7rocprim17ROCPRIM_304000_NS6detail20lookback_scan_kernelILNS1_25lookback_scan_determinismE0ELb0ENS1_19wrapped_scan_configINS0_14default_configEaEEPKaPaSt10multipliesIaEaaNS1_19lookback_scan_stateIaLb0ELb1EEEEEvT2_T3_mT5_T4_T7_jPT6_SK_bb
    .private_segment_fixed_size: 0
    .sgpr_count:     32
    .sgpr_spill_count: 0
    .symbol:         _ZN7rocprim17ROCPRIM_304000_NS6detail20lookback_scan_kernelILNS1_25lookback_scan_determinismE0ELb0ENS1_19wrapped_scan_configINS0_14default_configEaEEPKaPaSt10multipliesIaEaaNS1_19lookback_scan_stateIaLb0ELb1EEEEEvT2_T3_mT5_T4_T7_jPT6_SK_bb.kd
    .uniform_work_group_size: 1
    .uses_dynamic_stack: false
    .vgpr_count:     53
    .vgpr_spill_count: 0
    .wavefront_size: 64
  - .agpr_count:     0
    .args:
      - .address_space:  global
        .offset:         0
        .size:           8
        .value_kind:     global_buffer
      - .offset:         8
        .size:           8
        .value_kind:     by_value
      - .address_space:  global
        .offset:         16
        .size:           8
        .value_kind:     global_buffer
      - .offset:         24
        .size:           1
        .value_kind:     by_value
      - .offset:         32
        .size:           4
        .value_kind:     hidden_block_count_x
      - .offset:         36
        .size:           4
        .value_kind:     hidden_block_count_y
      - .offset:         40
        .size:           4
        .value_kind:     hidden_block_count_z
      - .offset:         44
        .size:           2
        .value_kind:     hidden_group_size_x
      - .offset:         46
        .size:           2
        .value_kind:     hidden_group_size_y
      - .offset:         48
        .size:           2
        .value_kind:     hidden_group_size_z
      - .offset:         50
        .size:           2
        .value_kind:     hidden_remainder_x
      - .offset:         52
        .size:           2
        .value_kind:     hidden_remainder_y
      - .offset:         54
        .size:           2
        .value_kind:     hidden_remainder_z
      - .offset:         72
        .size:           8
        .value_kind:     hidden_global_offset_x
      - .offset:         80
        .size:           8
        .value_kind:     hidden_global_offset_y
      - .offset:         88
        .size:           8
        .value_kind:     hidden_global_offset_z
      - .offset:         96
        .size:           2
        .value_kind:     hidden_grid_dims
    .group_segment_fixed_size: 0
    .kernarg_segment_align: 8
    .kernarg_segment_size: 288
    .language:       OpenCL C
    .language_version:
      - 2
      - 0
    .max_flat_workgroup_size: 256
    .name:           _ZN7rocprim17ROCPRIM_304000_NS6detail16transform_kernelINS1_24wrapped_transform_configINS0_14default_configEaEEaPaS6_NS0_8identityIaEEEEvT1_mT2_T3_
    .private_segment_fixed_size: 0
    .sgpr_count:     44
    .sgpr_spill_count: 0
    .symbol:         _ZN7rocprim17ROCPRIM_304000_NS6detail16transform_kernelINS1_24wrapped_transform_configINS0_14default_configEaEEaPaS6_NS0_8identityIaEEEEvT1_mT2_T3_.kd
    .uniform_work_group_size: 1
    .uses_dynamic_stack: false
    .vgpr_count:     22
    .vgpr_spill_count: 0
    .wavefront_size: 64
  - .agpr_count:     0
    .args:
      - .address_space:  global
        .offset:         0
        .size:           8
        .value_kind:     global_buffer
      - .offset:         8
        .size:           8
        .value_kind:     by_value
      - .offset:         16
        .size:           1
        .value_kind:     by_value
      - .address_space:  global
        .offset:         24
        .size:           8
        .value_kind:     global_buffer
      - .offset:         32
        .size:           1
        .value_kind:     by_value
    .group_segment_fixed_size: 6144
    .kernarg_segment_align: 8
    .kernarg_segment_size: 36
    .language:       OpenCL C
    .language_version:
      - 2
      - 0
    .max_flat_workgroup_size: 256
    .name:           _ZN7rocprim17ROCPRIM_304000_NS6detail18single_scan_kernelILb0ENS1_19wrapped_scan_configINS0_14default_configEaEEPKaPaSt10multipliesIaEaaEEvT1_mT4_T2_T3_
    .private_segment_fixed_size: 0
    .sgpr_count:     60
    .sgpr_spill_count: 0
    .symbol:         _ZN7rocprim17ROCPRIM_304000_NS6detail18single_scan_kernelILb0ENS1_19wrapped_scan_configINS0_14default_configEaEEPKaPaSt10multipliesIaEaaEEvT1_mT4_T2_T3_.kd
    .uniform_work_group_size: 1
    .uses_dynamic_stack: false
    .vgpr_count:     30
    .vgpr_spill_count: 0
    .wavefront_size: 64
  - .agpr_count:     0
    .args:
      - .address_space:  global
        .offset:         0
        .size:           8
        .value_kind:     global_buffer
      - .address_space:  global
        .offset:         8
        .size:           8
        .value_kind:     global_buffer
      - .offset:         16
        .size:           4
        .value_kind:     by_value
      - .offset:         20
        .size:           4
        .value_kind:     by_value
      - .offset:         24
        .size:           4
        .value_kind:     by_value
      - .offset:         28
        .size:           1
        .value_kind:     by_value
      - .offset:         29
        .size:           1
        .value_kind:     by_value
      - .offset:         32
        .size:           4
        .value_kind:     hidden_block_count_x
      - .offset:         36
        .size:           4
        .value_kind:     hidden_block_count_y
      - .offset:         40
        .size:           4
        .value_kind:     hidden_block_count_z
      - .offset:         44
        .size:           2
        .value_kind:     hidden_group_size_x
      - .offset:         46
        .size:           2
        .value_kind:     hidden_group_size_y
      - .offset:         48
        .size:           2
        .value_kind:     hidden_group_size_z
      - .offset:         50
        .size:           2
        .value_kind:     hidden_remainder_x
      - .offset:         52
        .size:           2
        .value_kind:     hidden_remainder_y
      - .offset:         54
        .size:           2
        .value_kind:     hidden_remainder_z
      - .offset:         72
        .size:           8
        .value_kind:     hidden_global_offset_x
      - .offset:         80
        .size:           8
        .value_kind:     hidden_global_offset_y
      - .offset:         88
        .size:           8
        .value_kind:     hidden_global_offset_z
      - .offset:         96
        .size:           2
        .value_kind:     hidden_grid_dims
      - .offset:         152
        .size:           4
        .value_kind:     hidden_dynamic_lds_size
    .group_segment_fixed_size: 0
    .kernarg_segment_align: 8
    .kernarg_segment_size: 288
    .language:       OpenCL C
    .language_version:
      - 2
      - 0
    .max_flat_workgroup_size: 1024
    .name:           _ZN2at6native32tensor_kernel_scan_innermost_dimIaSt10multipliesIaEEEvPT_PKS4_jjjS4_T0_
    .private_segment_fixed_size: 0
    .sgpr_count:     40
    .sgpr_spill_count: 0
    .symbol:         _ZN2at6native32tensor_kernel_scan_innermost_dimIaSt10multipliesIaEEEvPT_PKS4_jjjS4_T0_.kd
    .uniform_work_group_size: 1
    .uses_dynamic_stack: false
    .vgpr_count:     26
    .vgpr_spill_count: 0
    .wavefront_size: 64
  - .agpr_count:     0
    .args:
      - .address_space:  global
        .offset:         0
        .size:           8
        .value_kind:     global_buffer
      - .address_space:  global
        .offset:         8
        .size:           8
        .value_kind:     global_buffer
      - .offset:         16
        .size:           4
        .value_kind:     by_value
      - .offset:         20
        .size:           4
        .value_kind:     by_value
      - .offset:         24
        .size:           4
        .value_kind:     by_value
      - .offset:         28
        .size:           1
        .value_kind:     by_value
      - .offset:         29
        .size:           1
        .value_kind:     by_value
      - .offset:         32
        .size:           4
        .value_kind:     hidden_block_count_x
      - .offset:         36
        .size:           4
        .value_kind:     hidden_block_count_y
      - .offset:         40
        .size:           4
        .value_kind:     hidden_block_count_z
      - .offset:         44
        .size:           2
        .value_kind:     hidden_group_size_x
      - .offset:         46
        .size:           2
        .value_kind:     hidden_group_size_y
      - .offset:         48
        .size:           2
        .value_kind:     hidden_group_size_z
      - .offset:         50
        .size:           2
        .value_kind:     hidden_remainder_x
      - .offset:         52
        .size:           2
        .value_kind:     hidden_remainder_y
      - .offset:         54
        .size:           2
        .value_kind:     hidden_remainder_z
      - .offset:         72
        .size:           8
        .value_kind:     hidden_global_offset_x
      - .offset:         80
        .size:           8
        .value_kind:     hidden_global_offset_y
      - .offset:         88
        .size:           8
        .value_kind:     hidden_global_offset_z
      - .offset:         96
        .size:           2
        .value_kind:     hidden_grid_dims
    .group_segment_fixed_size: 0
    .kernarg_segment_align: 8
    .kernarg_segment_size: 288
    .language:       OpenCL C
    .language_version:
      - 2
      - 0
    .max_flat_workgroup_size: 1024
    .name:           _ZN2at6native28tensor_kernel_scan_outer_dimIajSt10multipliesIaEEEvPT_PKS4_jjjS4_T1_
    .private_segment_fixed_size: 0
    .sgpr_count:     34
    .sgpr_spill_count: 0
    .symbol:         _ZN2at6native28tensor_kernel_scan_outer_dimIajSt10multipliesIaEEEvPT_PKS4_jjjS4_T1_.kd
    .uniform_work_group_size: 1
    .uses_dynamic_stack: false
    .vgpr_count:     9
    .vgpr_spill_count: 0
    .wavefront_size: 64
  - .agpr_count:     0
    .args:
      - .address_space:  global
        .offset:         0
        .size:           8
        .value_kind:     global_buffer
      - .address_space:  global
        .offset:         8
        .size:           8
        .value_kind:     global_buffer
      - .offset:         16
        .size:           4
        .value_kind:     by_value
      - .offset:         20
        .size:           4
        .value_kind:     by_value
      - .offset:         24
        .size:           4
        .value_kind:     by_value
      - .offset:         28
        .size:           1
        .value_kind:     by_value
      - .offset:         29
        .size:           1
        .value_kind:     by_value
      - .offset:         32
        .size:           4
        .value_kind:     hidden_block_count_x
      - .offset:         36
        .size:           4
        .value_kind:     hidden_block_count_y
      - .offset:         40
        .size:           4
        .value_kind:     hidden_block_count_z
      - .offset:         44
        .size:           2
        .value_kind:     hidden_group_size_x
      - .offset:         46
        .size:           2
        .value_kind:     hidden_group_size_y
      - .offset:         48
        .size:           2
        .value_kind:     hidden_group_size_z
      - .offset:         50
        .size:           2
        .value_kind:     hidden_remainder_x
      - .offset:         52
        .size:           2
        .value_kind:     hidden_remainder_y
      - .offset:         54
        .size:           2
        .value_kind:     hidden_remainder_z
      - .offset:         72
        .size:           8
        .value_kind:     hidden_global_offset_x
      - .offset:         80
        .size:           8
        .value_kind:     hidden_global_offset_y
      - .offset:         88
        .size:           8
        .value_kind:     hidden_global_offset_z
      - .offset:         96
        .size:           2
        .value_kind:     hidden_grid_dims
    .group_segment_fixed_size: 0
    .kernarg_segment_align: 8
    .kernarg_segment_size: 288
    .language:       OpenCL C
    .language_version:
      - 2
      - 0
    .max_flat_workgroup_size: 1024
    .name:           _ZN2at6native28tensor_kernel_scan_outer_dimIamSt10multipliesIaEEEvPT_PKS4_jjjS4_T1_
    .private_segment_fixed_size: 0
    .sgpr_count:     35
    .sgpr_spill_count: 0
    .symbol:         _ZN2at6native28tensor_kernel_scan_outer_dimIamSt10multipliesIaEEEvPT_PKS4_jjjS4_T1_.kd
    .uniform_work_group_size: 1
    .uses_dynamic_stack: false
    .vgpr_count:     9
    .vgpr_spill_count: 0
    .wavefront_size: 64
  - .agpr_count:     0
    .args:
      - .address_space:  global
        .offset:         0
        .size:           8
        .value_kind:     global_buffer
      - .offset:         8
        .size:           4
        .value_kind:     by_value
      - .offset:         12
        .size:           4
        .value_kind:     by_value
      - .address_space:  global
        .offset:         16
        .size:           8
        .value_kind:     global_buffer
      - .offset:         24
        .size:           4
        .value_kind:     hidden_block_count_x
      - .offset:         28
        .size:           4
        .value_kind:     hidden_block_count_y
      - .offset:         32
        .size:           4
        .value_kind:     hidden_block_count_z
      - .offset:         36
        .size:           2
        .value_kind:     hidden_group_size_x
      - .offset:         38
        .size:           2
        .value_kind:     hidden_group_size_y
      - .offset:         40
        .size:           2
        .value_kind:     hidden_group_size_z
      - .offset:         42
        .size:           2
        .value_kind:     hidden_remainder_x
      - .offset:         44
        .size:           2
        .value_kind:     hidden_remainder_y
      - .offset:         46
        .size:           2
        .value_kind:     hidden_remainder_z
      - .offset:         64
        .size:           8
        .value_kind:     hidden_global_offset_x
      - .offset:         72
        .size:           8
        .value_kind:     hidden_global_offset_y
      - .offset:         80
        .size:           8
        .value_kind:     hidden_global_offset_z
      - .offset:         88
        .size:           2
        .value_kind:     hidden_grid_dims
    .group_segment_fixed_size: 0
    .kernarg_segment_align: 8
    .kernarg_segment_size: 280
    .language:       OpenCL C
    .language_version:
      - 2
      - 0
    .max_flat_workgroup_size: 256
    .name:           _ZN7rocprim17ROCPRIM_304000_NS6detail31init_lookback_scan_state_kernelINS1_19lookback_scan_stateIiLb1ELb1EEEEEvT_jjPNS5_10value_typeE
    .private_segment_fixed_size: 0
    .sgpr_count:     18
    .sgpr_spill_count: 0
    .symbol:         _ZN7rocprim17ROCPRIM_304000_NS6detail31init_lookback_scan_state_kernelINS1_19lookback_scan_stateIiLb1ELb1EEEEEvT_jjPNS5_10value_typeE.kd
    .uniform_work_group_size: 1
    .uses_dynamic_stack: false
    .vgpr_count:     6
    .vgpr_spill_count: 0
    .wavefront_size: 64
  - .agpr_count:     0
    .args:
      - .address_space:  global
        .offset:         0
        .size:           8
        .value_kind:     global_buffer
      - .offset:         8
        .size:           4
        .value_kind:     by_value
      - .offset:         12
        .size:           4
        .value_kind:     by_value
      - .address_space:  global
        .offset:         16
        .size:           8
        .value_kind:     global_buffer
      - .offset:         24
        .size:           4
        .value_kind:     hidden_block_count_x
      - .offset:         28
        .size:           4
        .value_kind:     hidden_block_count_y
      - .offset:         32
        .size:           4
        .value_kind:     hidden_block_count_z
      - .offset:         36
        .size:           2
        .value_kind:     hidden_group_size_x
      - .offset:         38
        .size:           2
        .value_kind:     hidden_group_size_y
      - .offset:         40
        .size:           2
        .value_kind:     hidden_group_size_z
      - .offset:         42
        .size:           2
        .value_kind:     hidden_remainder_x
      - .offset:         44
        .size:           2
        .value_kind:     hidden_remainder_y
      - .offset:         46
        .size:           2
        .value_kind:     hidden_remainder_z
      - .offset:         64
        .size:           8
        .value_kind:     hidden_global_offset_x
      - .offset:         72
        .size:           8
        .value_kind:     hidden_global_offset_y
      - .offset:         80
        .size:           8
        .value_kind:     hidden_global_offset_z
      - .offset:         88
        .size:           2
        .value_kind:     hidden_grid_dims
    .group_segment_fixed_size: 0
    .kernarg_segment_align: 8
    .kernarg_segment_size: 280
    .language:       OpenCL C
    .language_version:
      - 2
      - 0
    .max_flat_workgroup_size: 256
    .name:           _ZN7rocprim17ROCPRIM_304000_NS6detail31init_lookback_scan_state_kernelINS1_19lookback_scan_stateIiLb0ELb1EEEEEvT_jjPNS5_10value_typeE
    .private_segment_fixed_size: 0
    .sgpr_count:     16
    .sgpr_spill_count: 0
    .symbol:         _ZN7rocprim17ROCPRIM_304000_NS6detail31init_lookback_scan_state_kernelINS1_19lookback_scan_stateIiLb0ELb1EEEEEvT_jjPNS5_10value_typeE.kd
    .uniform_work_group_size: 1
    .uses_dynamic_stack: false
    .vgpr_count:     6
    .vgpr_spill_count: 0
    .wavefront_size: 64
  - .agpr_count:     0
    .args:
      - .address_space:  global
        .offset:         0
        .size:           8
        .value_kind:     global_buffer
      - .address_space:  global
        .offset:         8
        .size:           8
        .value_kind:     global_buffer
      - .offset:         16
        .size:           8
        .value_kind:     by_value
      - .offset:         24
        .size:           4
        .value_kind:     by_value
      - .offset:         28
        .size:           1
        .value_kind:     by_value
      - .address_space:  global
        .offset:         32
        .size:           8
        .value_kind:     global_buffer
      - .offset:         40
        .size:           4
        .value_kind:     by_value
      - .address_space:  global
        .offset:         48
        .size:           8
        .value_kind:     global_buffer
      - .address_space:  global
        .offset:         56
        .size:           8
        .value_kind:     global_buffer
      - .offset:         64
        .size:           1
        .value_kind:     by_value
      - .offset:         65
        .size:           1
        .value_kind:     by_value
    .group_segment_fixed_size: 0
    .kernarg_segment_align: 8
    .kernarg_segment_size: 68
    .language:       OpenCL C
    .language_version:
      - 2
      - 0
    .max_flat_workgroup_size: 256
    .name:           _ZN7rocprim17ROCPRIM_304000_NS6detail20lookback_scan_kernelILNS1_25lookback_scan_determinismE0ELb0ENS1_19wrapped_scan_configINS0_14default_configEiEEPKiPiSt10multipliesIiEiiNS1_19lookback_scan_stateIiLb1ELb1EEEEEvT2_T3_mT5_T4_T7_jPT6_SK_bb
    .private_segment_fixed_size: 0
    .sgpr_count:     6
    .sgpr_spill_count: 0
    .symbol:         _ZN7rocprim17ROCPRIM_304000_NS6detail20lookback_scan_kernelILNS1_25lookback_scan_determinismE0ELb0ENS1_19wrapped_scan_configINS0_14default_configEiEEPKiPiSt10multipliesIiEiiNS1_19lookback_scan_stateIiLb1ELb1EEEEEvT2_T3_mT5_T4_T7_jPT6_SK_bb.kd
    .uniform_work_group_size: 1
    .uses_dynamic_stack: false
    .vgpr_count:     0
    .vgpr_spill_count: 0
    .wavefront_size: 64
  - .agpr_count:     0
    .args:
      - .address_space:  global
        .offset:         0
        .size:           8
        .value_kind:     global_buffer
      - .address_space:  global
        .offset:         8
        .size:           8
        .value_kind:     global_buffer
      - .offset:         16
        .size:           8
        .value_kind:     by_value
      - .offset:         24
        .size:           4
        .value_kind:     by_value
      - .offset:         28
        .size:           1
        .value_kind:     by_value
      - .address_space:  global
        .offset:         32
        .size:           8
        .value_kind:     global_buffer
      - .offset:         40
        .size:           4
        .value_kind:     by_value
      - .address_space:  global
        .offset:         48
        .size:           8
        .value_kind:     global_buffer
      - .address_space:  global
        .offset:         56
        .size:           8
        .value_kind:     global_buffer
      - .offset:         64
        .size:           1
        .value_kind:     by_value
      - .offset:         65
        .size:           1
        .value_kind:     by_value
    .group_segment_fixed_size: 21504
    .kernarg_segment_align: 8
    .kernarg_segment_size: 68
    .language:       OpenCL C
    .language_version:
      - 2
      - 0
    .max_flat_workgroup_size: 256
    .name:           _ZN7rocprim17ROCPRIM_304000_NS6detail20lookback_scan_kernelILNS1_25lookback_scan_determinismE0ELb0ENS1_19wrapped_scan_configINS0_14default_configEiEEPKiPiSt10multipliesIiEiiNS1_19lookback_scan_stateIiLb0ELb1EEEEEvT2_T3_mT5_T4_T7_jPT6_SK_bb
    .private_segment_fixed_size: 0
    .sgpr_count:     30
    .sgpr_spill_count: 0
    .symbol:         _ZN7rocprim17ROCPRIM_304000_NS6detail20lookback_scan_kernelILNS1_25lookback_scan_determinismE0ELb0ENS1_19wrapped_scan_configINS0_14default_configEiEEPKiPiSt10multipliesIiEiiNS1_19lookback_scan_stateIiLb0ELb1EEEEEvT2_T3_mT5_T4_T7_jPT6_SK_bb.kd
    .uniform_work_group_size: 1
    .uses_dynamic_stack: false
    .vgpr_count:     53
    .vgpr_spill_count: 0
    .wavefront_size: 64
  - .agpr_count:     0
    .args:
      - .address_space:  global
        .offset:         0
        .size:           8
        .value_kind:     global_buffer
      - .offset:         8
        .size:           8
        .value_kind:     by_value
      - .address_space:  global
        .offset:         16
        .size:           8
        .value_kind:     global_buffer
      - .offset:         24
        .size:           1
        .value_kind:     by_value
      - .offset:         32
        .size:           4
        .value_kind:     hidden_block_count_x
      - .offset:         36
        .size:           4
        .value_kind:     hidden_block_count_y
      - .offset:         40
        .size:           4
        .value_kind:     hidden_block_count_z
      - .offset:         44
        .size:           2
        .value_kind:     hidden_group_size_x
      - .offset:         46
        .size:           2
        .value_kind:     hidden_group_size_y
      - .offset:         48
        .size:           2
        .value_kind:     hidden_group_size_z
      - .offset:         50
        .size:           2
        .value_kind:     hidden_remainder_x
      - .offset:         52
        .size:           2
        .value_kind:     hidden_remainder_y
      - .offset:         54
        .size:           2
        .value_kind:     hidden_remainder_z
      - .offset:         72
        .size:           8
        .value_kind:     hidden_global_offset_x
      - .offset:         80
        .size:           8
        .value_kind:     hidden_global_offset_y
      - .offset:         88
        .size:           8
        .value_kind:     hidden_global_offset_z
      - .offset:         96
        .size:           2
        .value_kind:     hidden_grid_dims
    .group_segment_fixed_size: 0
    .kernarg_segment_align: 8
    .kernarg_segment_size: 288
    .language:       OpenCL C
    .language_version:
      - 2
      - 0
    .max_flat_workgroup_size: 256
    .name:           _ZN7rocprim17ROCPRIM_304000_NS6detail16transform_kernelINS1_24wrapped_transform_configINS0_14default_configEiEEiPiS6_NS0_8identityIiEEEEvT1_mT2_T3_
    .private_segment_fixed_size: 0
    .sgpr_count:     20
    .sgpr_spill_count: 0
    .symbol:         _ZN7rocprim17ROCPRIM_304000_NS6detail16transform_kernelINS1_24wrapped_transform_configINS0_14default_configEiEEiPiS6_NS0_8identityIiEEEEvT1_mT2_T3_.kd
    .uniform_work_group_size: 1
    .uses_dynamic_stack: false
    .vgpr_count:     10
    .vgpr_spill_count: 0
    .wavefront_size: 64
  - .agpr_count:     0
    .args:
      - .address_space:  global
        .offset:         0
        .size:           8
        .value_kind:     global_buffer
      - .offset:         8
        .size:           8
        .value_kind:     by_value
      - .offset:         16
        .size:           4
        .value_kind:     by_value
      - .address_space:  global
        .offset:         24
        .size:           8
        .value_kind:     global_buffer
      - .offset:         32
        .size:           1
        .value_kind:     by_value
    .group_segment_fixed_size: 21504
    .kernarg_segment_align: 8
    .kernarg_segment_size: 36
    .language:       OpenCL C
    .language_version:
      - 2
      - 0
    .max_flat_workgroup_size: 256
    .name:           _ZN7rocprim17ROCPRIM_304000_NS6detail18single_scan_kernelILb0ENS1_19wrapped_scan_configINS0_14default_configEiEEPKiPiSt10multipliesIiEiiEEvT1_mT4_T2_T3_
    .private_segment_fixed_size: 0
    .sgpr_count:     54
    .sgpr_spill_count: 0
    .symbol:         _ZN7rocprim17ROCPRIM_304000_NS6detail18single_scan_kernelILb0ENS1_19wrapped_scan_configINS0_14default_configEiEEPKiPiSt10multipliesIiEiiEEvT1_mT4_T2_T3_.kd
    .uniform_work_group_size: 1
    .uses_dynamic_stack: false
    .vgpr_count:     29
    .vgpr_spill_count: 0
    .wavefront_size: 64
  - .agpr_count:     0
    .args:
      - .address_space:  global
        .offset:         0
        .size:           8
        .value_kind:     global_buffer
      - .address_space:  global
        .offset:         8
        .size:           8
        .value_kind:     global_buffer
      - .offset:         16
        .size:           4
        .value_kind:     by_value
      - .offset:         20
        .size:           4
        .value_kind:     by_value
      - .offset:         24
        .size:           4
        .value_kind:     by_value
      - .offset:         28
        .size:           4
        .value_kind:     by_value
      - .offset:         32
        .size:           1
        .value_kind:     by_value
      - .offset:         40
        .size:           4
        .value_kind:     hidden_block_count_x
      - .offset:         44
        .size:           4
        .value_kind:     hidden_block_count_y
      - .offset:         48
        .size:           4
        .value_kind:     hidden_block_count_z
      - .offset:         52
        .size:           2
        .value_kind:     hidden_group_size_x
      - .offset:         54
        .size:           2
        .value_kind:     hidden_group_size_y
      - .offset:         56
        .size:           2
        .value_kind:     hidden_group_size_z
      - .offset:         58
        .size:           2
        .value_kind:     hidden_remainder_x
      - .offset:         60
        .size:           2
        .value_kind:     hidden_remainder_y
      - .offset:         62
        .size:           2
        .value_kind:     hidden_remainder_z
      - .offset:         80
        .size:           8
        .value_kind:     hidden_global_offset_x
      - .offset:         88
        .size:           8
        .value_kind:     hidden_global_offset_y
      - .offset:         96
        .size:           8
        .value_kind:     hidden_global_offset_z
      - .offset:         104
        .size:           2
        .value_kind:     hidden_grid_dims
      - .offset:         160
        .size:           4
        .value_kind:     hidden_dynamic_lds_size
    .group_segment_fixed_size: 0
    .kernarg_segment_align: 8
    .kernarg_segment_size: 296
    .language:       OpenCL C
    .language_version:
      - 2
      - 0
    .max_flat_workgroup_size: 1024
    .name:           _ZN2at6native32tensor_kernel_scan_innermost_dimIiSt10multipliesIiEEEvPT_PKS4_jjjS4_T0_
    .private_segment_fixed_size: 0
    .sgpr_count:     40
    .sgpr_spill_count: 0
    .symbol:         _ZN2at6native32tensor_kernel_scan_innermost_dimIiSt10multipliesIiEEEvPT_PKS4_jjjS4_T0_.kd
    .uniform_work_group_size: 1
    .uses_dynamic_stack: false
    .vgpr_count:     24
    .vgpr_spill_count: 0
    .wavefront_size: 64
  - .agpr_count:     0
    .args:
      - .address_space:  global
        .offset:         0
        .size:           8
        .value_kind:     global_buffer
      - .address_space:  global
        .offset:         8
        .size:           8
        .value_kind:     global_buffer
      - .offset:         16
        .size:           4
        .value_kind:     by_value
      - .offset:         20
        .size:           4
        .value_kind:     by_value
      - .offset:         24
        .size:           4
        .value_kind:     by_value
      - .offset:         28
        .size:           4
        .value_kind:     by_value
      - .offset:         32
        .size:           1
        .value_kind:     by_value
      - .offset:         40
        .size:           4
        .value_kind:     hidden_block_count_x
      - .offset:         44
        .size:           4
        .value_kind:     hidden_block_count_y
      - .offset:         48
        .size:           4
        .value_kind:     hidden_block_count_z
      - .offset:         52
        .size:           2
        .value_kind:     hidden_group_size_x
      - .offset:         54
        .size:           2
        .value_kind:     hidden_group_size_y
      - .offset:         56
        .size:           2
        .value_kind:     hidden_group_size_z
      - .offset:         58
        .size:           2
        .value_kind:     hidden_remainder_x
      - .offset:         60
        .size:           2
        .value_kind:     hidden_remainder_y
      - .offset:         62
        .size:           2
        .value_kind:     hidden_remainder_z
      - .offset:         80
        .size:           8
        .value_kind:     hidden_global_offset_x
      - .offset:         88
        .size:           8
        .value_kind:     hidden_global_offset_y
      - .offset:         96
        .size:           8
        .value_kind:     hidden_global_offset_z
      - .offset:         104
        .size:           2
        .value_kind:     hidden_grid_dims
    .group_segment_fixed_size: 0
    .kernarg_segment_align: 8
    .kernarg_segment_size: 296
    .language:       OpenCL C
    .language_version:
      - 2
      - 0
    .max_flat_workgroup_size: 1024
    .name:           _ZN2at6native28tensor_kernel_scan_outer_dimIijSt10multipliesIiEEEvPT_PKS4_jjjS4_T1_
    .private_segment_fixed_size: 0
    .sgpr_count:     36
    .sgpr_spill_count: 0
    .symbol:         _ZN2at6native28tensor_kernel_scan_outer_dimIijSt10multipliesIiEEEvPT_PKS4_jjjS4_T1_.kd
    .uniform_work_group_size: 1
    .uses_dynamic_stack: false
    .vgpr_count:     9
    .vgpr_spill_count: 0
    .wavefront_size: 64
  - .agpr_count:     0
    .args:
      - .address_space:  global
        .offset:         0
        .size:           8
        .value_kind:     global_buffer
      - .address_space:  global
        .offset:         8
        .size:           8
        .value_kind:     global_buffer
      - .offset:         16
        .size:           4
        .value_kind:     by_value
      - .offset:         20
        .size:           4
        .value_kind:     by_value
      - .offset:         24
        .size:           4
        .value_kind:     by_value
      - .offset:         28
        .size:           4
        .value_kind:     by_value
      - .offset:         32
        .size:           1
        .value_kind:     by_value
      - .offset:         40
        .size:           4
        .value_kind:     hidden_block_count_x
      - .offset:         44
        .size:           4
        .value_kind:     hidden_block_count_y
      - .offset:         48
        .size:           4
        .value_kind:     hidden_block_count_z
      - .offset:         52
        .size:           2
        .value_kind:     hidden_group_size_x
      - .offset:         54
        .size:           2
        .value_kind:     hidden_group_size_y
      - .offset:         56
        .size:           2
        .value_kind:     hidden_group_size_z
      - .offset:         58
        .size:           2
        .value_kind:     hidden_remainder_x
      - .offset:         60
        .size:           2
        .value_kind:     hidden_remainder_y
      - .offset:         62
        .size:           2
        .value_kind:     hidden_remainder_z
      - .offset:         80
        .size:           8
        .value_kind:     hidden_global_offset_x
      - .offset:         88
        .size:           8
        .value_kind:     hidden_global_offset_y
      - .offset:         96
        .size:           8
        .value_kind:     hidden_global_offset_z
      - .offset:         104
        .size:           2
        .value_kind:     hidden_grid_dims
    .group_segment_fixed_size: 0
    .kernarg_segment_align: 8
    .kernarg_segment_size: 296
    .language:       OpenCL C
    .language_version:
      - 2
      - 0
    .max_flat_workgroup_size: 1024
    .name:           _ZN2at6native28tensor_kernel_scan_outer_dimIimSt10multipliesIiEEEvPT_PKS4_jjjS4_T1_
    .private_segment_fixed_size: 0
    .sgpr_count:     35
    .sgpr_spill_count: 0
    .symbol:         _ZN2at6native28tensor_kernel_scan_outer_dimIimSt10multipliesIiEEEvPT_PKS4_jjjS4_T1_.kd
    .uniform_work_group_size: 1
    .uses_dynamic_stack: false
    .vgpr_count:     9
    .vgpr_spill_count: 0
    .wavefront_size: 64
  - .agpr_count:     0
    .args:
      - .address_space:  global
        .offset:         0
        .size:           8
        .value_kind:     global_buffer
      - .offset:         8
        .size:           4
        .value_kind:     by_value
      - .offset:         12
        .size:           4
        .value_kind:     by_value
      - .address_space:  global
        .offset:         16
        .size:           8
        .value_kind:     global_buffer
      - .offset:         24
        .size:           4
        .value_kind:     hidden_block_count_x
      - .offset:         28
        .size:           4
        .value_kind:     hidden_block_count_y
      - .offset:         32
        .size:           4
        .value_kind:     hidden_block_count_z
      - .offset:         36
        .size:           2
        .value_kind:     hidden_group_size_x
      - .offset:         38
        .size:           2
        .value_kind:     hidden_group_size_y
      - .offset:         40
        .size:           2
        .value_kind:     hidden_group_size_z
      - .offset:         42
        .size:           2
        .value_kind:     hidden_remainder_x
      - .offset:         44
        .size:           2
        .value_kind:     hidden_remainder_y
      - .offset:         46
        .size:           2
        .value_kind:     hidden_remainder_z
      - .offset:         64
        .size:           8
        .value_kind:     hidden_global_offset_x
      - .offset:         72
        .size:           8
        .value_kind:     hidden_global_offset_y
      - .offset:         80
        .size:           8
        .value_kind:     hidden_global_offset_z
      - .offset:         88
        .size:           2
        .value_kind:     hidden_grid_dims
    .group_segment_fixed_size: 0
    .kernarg_segment_align: 8
    .kernarg_segment_size: 280
    .language:       OpenCL C
    .language_version:
      - 2
      - 0
    .max_flat_workgroup_size: 256
    .name:           _ZN7rocprim17ROCPRIM_304000_NS6detail31init_lookback_scan_state_kernelINS1_19lookback_scan_stateIlLb1ELb1EEEEEvT_jjPNS5_10value_typeE
    .private_segment_fixed_size: 0
    .sgpr_count:     20
    .sgpr_spill_count: 0
    .symbol:         _ZN7rocprim17ROCPRIM_304000_NS6detail31init_lookback_scan_state_kernelINS1_19lookback_scan_stateIlLb1ELb1EEEEEvT_jjPNS5_10value_typeE.kd
    .uniform_work_group_size: 1
    .uses_dynamic_stack: false
    .vgpr_count:     10
    .vgpr_spill_count: 0
    .wavefront_size: 64
  - .agpr_count:     0
    .args:
      - .address_space:  global
        .offset:         0
        .size:           8
        .value_kind:     global_buffer
      - .offset:         8
        .size:           4
        .value_kind:     by_value
      - .offset:         12
        .size:           4
        .value_kind:     by_value
      - .address_space:  global
        .offset:         16
        .size:           8
        .value_kind:     global_buffer
      - .offset:         24
        .size:           4
        .value_kind:     hidden_block_count_x
      - .offset:         28
        .size:           4
        .value_kind:     hidden_block_count_y
      - .offset:         32
        .size:           4
        .value_kind:     hidden_block_count_z
      - .offset:         36
        .size:           2
        .value_kind:     hidden_group_size_x
      - .offset:         38
        .size:           2
        .value_kind:     hidden_group_size_y
      - .offset:         40
        .size:           2
        .value_kind:     hidden_group_size_z
      - .offset:         42
        .size:           2
        .value_kind:     hidden_remainder_x
      - .offset:         44
        .size:           2
        .value_kind:     hidden_remainder_y
      - .offset:         46
        .size:           2
        .value_kind:     hidden_remainder_z
      - .offset:         64
        .size:           8
        .value_kind:     hidden_global_offset_x
      - .offset:         72
        .size:           8
        .value_kind:     hidden_global_offset_y
      - .offset:         80
        .size:           8
        .value_kind:     hidden_global_offset_z
      - .offset:         88
        .size:           2
        .value_kind:     hidden_grid_dims
    .group_segment_fixed_size: 0
    .kernarg_segment_align: 8
    .kernarg_segment_size: 280
    .language:       OpenCL C
    .language_version:
      - 2
      - 0
    .max_flat_workgroup_size: 256
    .name:           _ZN7rocprim17ROCPRIM_304000_NS6detail31init_lookback_scan_state_kernelINS1_19lookback_scan_stateIlLb0ELb1EEEEEvT_jjPNS5_10value_typeE
    .private_segment_fixed_size: 0
    .sgpr_count:     20
    .sgpr_spill_count: 0
    .symbol:         _ZN7rocprim17ROCPRIM_304000_NS6detail31init_lookback_scan_state_kernelINS1_19lookback_scan_stateIlLb0ELb1EEEEEvT_jjPNS5_10value_typeE.kd
    .uniform_work_group_size: 1
    .uses_dynamic_stack: false
    .vgpr_count:     10
    .vgpr_spill_count: 0
    .wavefront_size: 64
  - .agpr_count:     0
    .args:
      - .address_space:  global
        .offset:         0
        .size:           8
        .value_kind:     global_buffer
      - .address_space:  global
        .offset:         8
        .size:           8
        .value_kind:     global_buffer
      - .offset:         16
        .size:           8
        .value_kind:     by_value
      - .offset:         24
        .size:           8
        .value_kind:     by_value
      - .offset:         32
        .size:           1
        .value_kind:     by_value
      - .address_space:  global
        .offset:         40
        .size:           8
        .value_kind:     global_buffer
      - .offset:         48
        .size:           4
        .value_kind:     by_value
      - .address_space:  global
        .offset:         56
        .size:           8
        .value_kind:     global_buffer
      - .address_space:  global
        .offset:         64
        .size:           8
        .value_kind:     global_buffer
      - .offset:         72
        .size:           1
        .value_kind:     by_value
      - .offset:         73
        .size:           1
        .value_kind:     by_value
    .group_segment_fixed_size: 0
    .kernarg_segment_align: 8
    .kernarg_segment_size: 76
    .language:       OpenCL C
    .language_version:
      - 2
      - 0
    .max_flat_workgroup_size: 256
    .name:           _ZN7rocprim17ROCPRIM_304000_NS6detail20lookback_scan_kernelILNS1_25lookback_scan_determinismE0ELb0ENS1_19wrapped_scan_configINS0_14default_configElEEPKlPlSt10multipliesIlEllNS1_19lookback_scan_stateIlLb1ELb1EEEEEvT2_T3_mT5_T4_T7_jPT6_SK_bb
    .private_segment_fixed_size: 0
    .sgpr_count:     6
    .sgpr_spill_count: 0
    .symbol:         _ZN7rocprim17ROCPRIM_304000_NS6detail20lookback_scan_kernelILNS1_25lookback_scan_determinismE0ELb0ENS1_19wrapped_scan_configINS0_14default_configElEEPKlPlSt10multipliesIlEllNS1_19lookback_scan_stateIlLb1ELb1EEEEEvT2_T3_mT5_T4_T7_jPT6_SK_bb.kd
    .uniform_work_group_size: 1
    .uses_dynamic_stack: false
    .vgpr_count:     0
    .vgpr_spill_count: 0
    .wavefront_size: 64
  - .agpr_count:     0
    .args:
      - .address_space:  global
        .offset:         0
        .size:           8
        .value_kind:     global_buffer
      - .address_space:  global
        .offset:         8
        .size:           8
        .value_kind:     global_buffer
      - .offset:         16
        .size:           8
        .value_kind:     by_value
      - .offset:         24
        .size:           8
        .value_kind:     by_value
      - .offset:         32
        .size:           1
        .value_kind:     by_value
      - .address_space:  global
        .offset:         40
        .size:           8
        .value_kind:     global_buffer
      - .offset:         48
        .size:           4
        .value_kind:     by_value
      - .address_space:  global
        .offset:         56
        .size:           8
        .value_kind:     global_buffer
      - .address_space:  global
        .offset:         64
        .size:           8
        .value_kind:     global_buffer
      - .offset:         72
        .size:           1
        .value_kind:     by_value
      - .offset:         73
        .size:           1
        .value_kind:     by_value
    .group_segment_fixed_size: 30720
    .kernarg_segment_align: 8
    .kernarg_segment_size: 76
    .language:       OpenCL C
    .language_version:
      - 2
      - 0
    .max_flat_workgroup_size: 256
    .name:           _ZN7rocprim17ROCPRIM_304000_NS6detail20lookback_scan_kernelILNS1_25lookback_scan_determinismE0ELb0ENS1_19wrapped_scan_configINS0_14default_configElEEPKlPlSt10multipliesIlEllNS1_19lookback_scan_stateIlLb0ELb1EEEEEvT2_T3_mT5_T4_T7_jPT6_SK_bb
    .private_segment_fixed_size: 0
    .sgpr_count:     74
    .sgpr_spill_count: 0
    .symbol:         _ZN7rocprim17ROCPRIM_304000_NS6detail20lookback_scan_kernelILNS1_25lookback_scan_determinismE0ELb0ENS1_19wrapped_scan_configINS0_14default_configElEEPKlPlSt10multipliesIlEllNS1_19lookback_scan_stateIlLb0ELb1EEEEEvT2_T3_mT5_T4_T7_jPT6_SK_bb.kd
    .uniform_work_group_size: 1
    .uses_dynamic_stack: false
    .vgpr_count:     67
    .vgpr_spill_count: 0
    .wavefront_size: 64
  - .agpr_count:     0
    .args:
      - .address_space:  global
        .offset:         0
        .size:           8
        .value_kind:     global_buffer
      - .offset:         8
        .size:           8
        .value_kind:     by_value
      - .address_space:  global
        .offset:         16
        .size:           8
        .value_kind:     global_buffer
      - .offset:         24
        .size:           1
        .value_kind:     by_value
      - .offset:         32
        .size:           4
        .value_kind:     hidden_block_count_x
      - .offset:         36
        .size:           4
        .value_kind:     hidden_block_count_y
      - .offset:         40
        .size:           4
        .value_kind:     hidden_block_count_z
      - .offset:         44
        .size:           2
        .value_kind:     hidden_group_size_x
      - .offset:         46
        .size:           2
        .value_kind:     hidden_group_size_y
      - .offset:         48
        .size:           2
        .value_kind:     hidden_group_size_z
      - .offset:         50
        .size:           2
        .value_kind:     hidden_remainder_x
      - .offset:         52
        .size:           2
        .value_kind:     hidden_remainder_y
      - .offset:         54
        .size:           2
        .value_kind:     hidden_remainder_z
      - .offset:         72
        .size:           8
        .value_kind:     hidden_global_offset_x
      - .offset:         80
        .size:           8
        .value_kind:     hidden_global_offset_y
      - .offset:         88
        .size:           8
        .value_kind:     hidden_global_offset_z
      - .offset:         96
        .size:           2
        .value_kind:     hidden_grid_dims
    .group_segment_fixed_size: 0
    .kernarg_segment_align: 8
    .kernarg_segment_size: 288
    .language:       OpenCL C
    .language_version:
      - 2
      - 0
    .max_flat_workgroup_size: 256
    .name:           _ZN7rocprim17ROCPRIM_304000_NS6detail16transform_kernelINS1_24wrapped_transform_configINS0_14default_configElEElPlS6_NS0_8identityIlEEEEvT1_mT2_T3_
    .private_segment_fixed_size: 0
    .sgpr_count:     18
    .sgpr_spill_count: 0
    .symbol:         _ZN7rocprim17ROCPRIM_304000_NS6detail16transform_kernelINS1_24wrapped_transform_configINS0_14default_configElEElPlS6_NS0_8identityIlEEEEvT1_mT2_T3_.kd
    .uniform_work_group_size: 1
    .uses_dynamic_stack: false
    .vgpr_count:     10
    .vgpr_spill_count: 0
    .wavefront_size: 64
  - .agpr_count:     0
    .args:
      - .address_space:  global
        .offset:         0
        .size:           8
        .value_kind:     global_buffer
      - .offset:         8
        .size:           8
        .value_kind:     by_value
      - .offset:         16
        .size:           8
        .value_kind:     by_value
      - .address_space:  global
        .offset:         24
        .size:           8
        .value_kind:     global_buffer
      - .offset:         32
        .size:           1
        .value_kind:     by_value
    .group_segment_fixed_size: 30720
    .kernarg_segment_align: 8
    .kernarg_segment_size: 36
    .language:       OpenCL C
    .language_version:
      - 2
      - 0
    .max_flat_workgroup_size: 256
    .name:           _ZN7rocprim17ROCPRIM_304000_NS6detail18single_scan_kernelILb0ENS1_19wrapped_scan_configINS0_14default_configElEEPKlPlSt10multipliesIlEllEEvT1_mT4_T2_T3_
    .private_segment_fixed_size: 0
    .sgpr_count:     74
    .sgpr_spill_count: 0
    .symbol:         _ZN7rocprim17ROCPRIM_304000_NS6detail18single_scan_kernelILb0ENS1_19wrapped_scan_configINS0_14default_configElEEPKlPlSt10multipliesIlEllEEvT1_mT4_T2_T3_.kd
    .uniform_work_group_size: 1
    .uses_dynamic_stack: false
    .vgpr_count:     50
    .vgpr_spill_count: 0
    .wavefront_size: 64
  - .agpr_count:     0
    .args:
      - .address_space:  global
        .offset:         0
        .size:           8
        .value_kind:     global_buffer
      - .address_space:  global
        .offset:         8
        .size:           8
        .value_kind:     global_buffer
      - .offset:         16
        .size:           4
        .value_kind:     by_value
      - .offset:         20
        .size:           4
        .value_kind:     by_value
      - .offset:         24
        .size:           4
        .value_kind:     by_value
      - .offset:         32
        .size:           8
        .value_kind:     by_value
      - .offset:         40
        .size:           1
        .value_kind:     by_value
      - .offset:         48
        .size:           4
        .value_kind:     hidden_block_count_x
      - .offset:         52
        .size:           4
        .value_kind:     hidden_block_count_y
      - .offset:         56
        .size:           4
        .value_kind:     hidden_block_count_z
      - .offset:         60
        .size:           2
        .value_kind:     hidden_group_size_x
      - .offset:         62
        .size:           2
        .value_kind:     hidden_group_size_y
      - .offset:         64
        .size:           2
        .value_kind:     hidden_group_size_z
      - .offset:         66
        .size:           2
        .value_kind:     hidden_remainder_x
      - .offset:         68
        .size:           2
        .value_kind:     hidden_remainder_y
      - .offset:         70
        .size:           2
        .value_kind:     hidden_remainder_z
      - .offset:         88
        .size:           8
        .value_kind:     hidden_global_offset_x
      - .offset:         96
        .size:           8
        .value_kind:     hidden_global_offset_y
      - .offset:         104
        .size:           8
        .value_kind:     hidden_global_offset_z
      - .offset:         112
        .size:           2
        .value_kind:     hidden_grid_dims
      - .offset:         168
        .size:           4
        .value_kind:     hidden_dynamic_lds_size
    .group_segment_fixed_size: 0
    .kernarg_segment_align: 8
    .kernarg_segment_size: 304
    .language:       OpenCL C
    .language_version:
      - 2
      - 0
    .max_flat_workgroup_size: 1024
    .name:           _ZN2at6native32tensor_kernel_scan_innermost_dimIlSt10multipliesIlEEEvPT_PKS4_jjjS4_T0_
    .private_segment_fixed_size: 0
    .sgpr_count:     41
    .sgpr_spill_count: 0
    .symbol:         _ZN2at6native32tensor_kernel_scan_innermost_dimIlSt10multipliesIlEEEvPT_PKS4_jjjS4_T0_.kd
    .uniform_work_group_size: 1
    .uses_dynamic_stack: false
    .vgpr_count:     23
    .vgpr_spill_count: 0
    .wavefront_size: 64
  - .agpr_count:     0
    .args:
      - .address_space:  global
        .offset:         0
        .size:           8
        .value_kind:     global_buffer
      - .address_space:  global
        .offset:         8
        .size:           8
        .value_kind:     global_buffer
      - .offset:         16
        .size:           4
        .value_kind:     by_value
      - .offset:         20
        .size:           4
        .value_kind:     by_value
      - .offset:         24
        .size:           4
        .value_kind:     by_value
      - .offset:         32
        .size:           8
        .value_kind:     by_value
      - .offset:         40
        .size:           1
        .value_kind:     by_value
      - .offset:         48
        .size:           4
        .value_kind:     hidden_block_count_x
      - .offset:         52
        .size:           4
        .value_kind:     hidden_block_count_y
      - .offset:         56
        .size:           4
        .value_kind:     hidden_block_count_z
      - .offset:         60
        .size:           2
        .value_kind:     hidden_group_size_x
      - .offset:         62
        .size:           2
        .value_kind:     hidden_group_size_y
      - .offset:         64
        .size:           2
        .value_kind:     hidden_group_size_z
      - .offset:         66
        .size:           2
        .value_kind:     hidden_remainder_x
      - .offset:         68
        .size:           2
        .value_kind:     hidden_remainder_y
      - .offset:         70
        .size:           2
        .value_kind:     hidden_remainder_z
      - .offset:         88
        .size:           8
        .value_kind:     hidden_global_offset_x
      - .offset:         96
        .size:           8
        .value_kind:     hidden_global_offset_y
      - .offset:         104
        .size:           8
        .value_kind:     hidden_global_offset_z
      - .offset:         112
        .size:           2
        .value_kind:     hidden_grid_dims
    .group_segment_fixed_size: 0
    .kernarg_segment_align: 8
    .kernarg_segment_size: 304
    .language:       OpenCL C
    .language_version:
      - 2
      - 0
    .max_flat_workgroup_size: 1024
    .name:           _ZN2at6native28tensor_kernel_scan_outer_dimIljSt10multipliesIlEEEvPT_PKS4_jjjS4_T1_
    .private_segment_fixed_size: 0
    .sgpr_count:     42
    .sgpr_spill_count: 0
    .symbol:         _ZN2at6native28tensor_kernel_scan_outer_dimIljSt10multipliesIlEEEvPT_PKS4_jjjS4_T1_.kd
    .uniform_work_group_size: 1
    .uses_dynamic_stack: false
    .vgpr_count:     12
    .vgpr_spill_count: 0
    .wavefront_size: 64
  - .agpr_count:     0
    .args:
      - .address_space:  global
        .offset:         0
        .size:           8
        .value_kind:     global_buffer
      - .address_space:  global
        .offset:         8
        .size:           8
        .value_kind:     global_buffer
      - .offset:         16
        .size:           4
        .value_kind:     by_value
      - .offset:         20
        .size:           4
        .value_kind:     by_value
      - .offset:         24
        .size:           4
        .value_kind:     by_value
      - .offset:         32
        .size:           8
        .value_kind:     by_value
      - .offset:         40
        .size:           1
        .value_kind:     by_value
      - .offset:         48
        .size:           4
        .value_kind:     hidden_block_count_x
      - .offset:         52
        .size:           4
        .value_kind:     hidden_block_count_y
      - .offset:         56
        .size:           4
        .value_kind:     hidden_block_count_z
      - .offset:         60
        .size:           2
        .value_kind:     hidden_group_size_x
      - .offset:         62
        .size:           2
        .value_kind:     hidden_group_size_y
      - .offset:         64
        .size:           2
        .value_kind:     hidden_group_size_z
      - .offset:         66
        .size:           2
        .value_kind:     hidden_remainder_x
      - .offset:         68
        .size:           2
        .value_kind:     hidden_remainder_y
      - .offset:         70
        .size:           2
        .value_kind:     hidden_remainder_z
      - .offset:         88
        .size:           8
        .value_kind:     hidden_global_offset_x
      - .offset:         96
        .size:           8
        .value_kind:     hidden_global_offset_y
      - .offset:         104
        .size:           8
        .value_kind:     hidden_global_offset_z
      - .offset:         112
        .size:           2
        .value_kind:     hidden_grid_dims
    .group_segment_fixed_size: 0
    .kernarg_segment_align: 8
    .kernarg_segment_size: 304
    .language:       OpenCL C
    .language_version:
      - 2
      - 0
    .max_flat_workgroup_size: 1024
    .name:           _ZN2at6native28tensor_kernel_scan_outer_dimIlmSt10multipliesIlEEEvPT_PKS4_jjjS4_T1_
    .private_segment_fixed_size: 0
    .sgpr_count:     38
    .sgpr_spill_count: 0
    .symbol:         _ZN2at6native28tensor_kernel_scan_outer_dimIlmSt10multipliesIlEEEvPT_PKS4_jjjS4_T1_.kd
    .uniform_work_group_size: 1
    .uses_dynamic_stack: false
    .vgpr_count:     12
    .vgpr_spill_count: 0
    .wavefront_size: 64
  - .agpr_count:     0
    .args:
      - .address_space:  global
        .offset:         0
        .size:           8
        .value_kind:     global_buffer
      - .offset:         8
        .size:           4
        .value_kind:     by_value
      - .offset:         12
        .size:           4
        .value_kind:     by_value
      - .address_space:  global
        .offset:         16
        .size:           8
        .value_kind:     global_buffer
      - .offset:         24
        .size:           4
        .value_kind:     hidden_block_count_x
      - .offset:         28
        .size:           4
        .value_kind:     hidden_block_count_y
      - .offset:         32
        .size:           4
        .value_kind:     hidden_block_count_z
      - .offset:         36
        .size:           2
        .value_kind:     hidden_group_size_x
      - .offset:         38
        .size:           2
        .value_kind:     hidden_group_size_y
      - .offset:         40
        .size:           2
        .value_kind:     hidden_group_size_z
      - .offset:         42
        .size:           2
        .value_kind:     hidden_remainder_x
      - .offset:         44
        .size:           2
        .value_kind:     hidden_remainder_y
      - .offset:         46
        .size:           2
        .value_kind:     hidden_remainder_z
      - .offset:         64
        .size:           8
        .value_kind:     hidden_global_offset_x
      - .offset:         72
        .size:           8
        .value_kind:     hidden_global_offset_y
      - .offset:         80
        .size:           8
        .value_kind:     hidden_global_offset_z
      - .offset:         88
        .size:           2
        .value_kind:     hidden_grid_dims
    .group_segment_fixed_size: 0
    .kernarg_segment_align: 8
    .kernarg_segment_size: 280
    .language:       OpenCL C
    .language_version:
      - 2
      - 0
    .max_flat_workgroup_size: 256
    .name:           _ZN7rocprim17ROCPRIM_304000_NS6detail31init_lookback_scan_state_kernelINS1_19lookback_scan_stateIsLb1ELb1EEEEEvT_jjPNS5_10value_typeE
    .private_segment_fixed_size: 0
    .sgpr_count:     18
    .sgpr_spill_count: 0
    .symbol:         _ZN7rocprim17ROCPRIM_304000_NS6detail31init_lookback_scan_state_kernelINS1_19lookback_scan_stateIsLb1ELb1EEEEEvT_jjPNS5_10value_typeE.kd
    .uniform_work_group_size: 1
    .uses_dynamic_stack: false
    .vgpr_count:     6
    .vgpr_spill_count: 0
    .wavefront_size: 64
  - .agpr_count:     0
    .args:
      - .address_space:  global
        .offset:         0
        .size:           8
        .value_kind:     global_buffer
      - .offset:         8
        .size:           4
        .value_kind:     by_value
      - .offset:         12
        .size:           4
        .value_kind:     by_value
      - .address_space:  global
        .offset:         16
        .size:           8
        .value_kind:     global_buffer
      - .offset:         24
        .size:           4
        .value_kind:     hidden_block_count_x
      - .offset:         28
        .size:           4
        .value_kind:     hidden_block_count_y
      - .offset:         32
        .size:           4
        .value_kind:     hidden_block_count_z
      - .offset:         36
        .size:           2
        .value_kind:     hidden_group_size_x
      - .offset:         38
        .size:           2
        .value_kind:     hidden_group_size_y
      - .offset:         40
        .size:           2
        .value_kind:     hidden_group_size_z
      - .offset:         42
        .size:           2
        .value_kind:     hidden_remainder_x
      - .offset:         44
        .size:           2
        .value_kind:     hidden_remainder_y
      - .offset:         46
        .size:           2
        .value_kind:     hidden_remainder_z
      - .offset:         64
        .size:           8
        .value_kind:     hidden_global_offset_x
      - .offset:         72
        .size:           8
        .value_kind:     hidden_global_offset_y
      - .offset:         80
        .size:           8
        .value_kind:     hidden_global_offset_z
      - .offset:         88
        .size:           2
        .value_kind:     hidden_grid_dims
    .group_segment_fixed_size: 0
    .kernarg_segment_align: 8
    .kernarg_segment_size: 280
    .language:       OpenCL C
    .language_version:
      - 2
      - 0
    .max_flat_workgroup_size: 256
    .name:           _ZN7rocprim17ROCPRIM_304000_NS6detail31init_lookback_scan_state_kernelINS1_19lookback_scan_stateIsLb0ELb1EEEEEvT_jjPNS5_10value_typeE
    .private_segment_fixed_size: 0
    .sgpr_count:     16
    .sgpr_spill_count: 0
    .symbol:         _ZN7rocprim17ROCPRIM_304000_NS6detail31init_lookback_scan_state_kernelINS1_19lookback_scan_stateIsLb0ELb1EEEEEvT_jjPNS5_10value_typeE.kd
    .uniform_work_group_size: 1
    .uses_dynamic_stack: false
    .vgpr_count:     6
    .vgpr_spill_count: 0
    .wavefront_size: 64
  - .agpr_count:     0
    .args:
      - .address_space:  global
        .offset:         0
        .size:           8
        .value_kind:     global_buffer
      - .address_space:  global
        .offset:         8
        .size:           8
        .value_kind:     global_buffer
      - .offset:         16
        .size:           8
        .value_kind:     by_value
      - .offset:         24
        .size:           2
        .value_kind:     by_value
      - .offset:         26
        .size:           1
        .value_kind:     by_value
      - .address_space:  global
        .offset:         32
        .size:           8
        .value_kind:     global_buffer
      - .offset:         40
        .size:           4
        .value_kind:     by_value
      - .address_space:  global
        .offset:         48
        .size:           8
        .value_kind:     global_buffer
      - .address_space:  global
        .offset:         56
        .size:           8
        .value_kind:     global_buffer
      - .offset:         64
        .size:           1
        .value_kind:     by_value
      - .offset:         65
        .size:           1
        .value_kind:     by_value
    .group_segment_fixed_size: 0
    .kernarg_segment_align: 8
    .kernarg_segment_size: 68
    .language:       OpenCL C
    .language_version:
      - 2
      - 0
    .max_flat_workgroup_size: 256
    .name:           _ZN7rocprim17ROCPRIM_304000_NS6detail20lookback_scan_kernelILNS1_25lookback_scan_determinismE0ELb0ENS1_19wrapped_scan_configINS0_14default_configEsEEPKsPsSt10multipliesIsEssNS1_19lookback_scan_stateIsLb1ELb1EEEEEvT2_T3_mT5_T4_T7_jPT6_SK_bb
    .private_segment_fixed_size: 0
    .sgpr_count:     6
    .sgpr_spill_count: 0
    .symbol:         _ZN7rocprim17ROCPRIM_304000_NS6detail20lookback_scan_kernelILNS1_25lookback_scan_determinismE0ELb0ENS1_19wrapped_scan_configINS0_14default_configEsEEPKsPsSt10multipliesIsEssNS1_19lookback_scan_stateIsLb1ELb1EEEEEvT2_T3_mT5_T4_T7_jPT6_SK_bb.kd
    .uniform_work_group_size: 1
    .uses_dynamic_stack: false
    .vgpr_count:     0
    .vgpr_spill_count: 0
    .wavefront_size: 64
  - .agpr_count:     0
    .args:
      - .address_space:  global
        .offset:         0
        .size:           8
        .value_kind:     global_buffer
      - .address_space:  global
        .offset:         8
        .size:           8
        .value_kind:     global_buffer
      - .offset:         16
        .size:           8
        .value_kind:     by_value
      - .offset:         24
        .size:           2
        .value_kind:     by_value
      - .offset:         26
        .size:           1
        .value_kind:     by_value
      - .address_space:  global
        .offset:         32
        .size:           8
        .value_kind:     global_buffer
      - .offset:         40
        .size:           4
        .value_kind:     by_value
      - .address_space:  global
        .offset:         48
        .size:           8
        .value_kind:     global_buffer
      - .address_space:  global
        .offset:         56
        .size:           8
        .value_kind:     global_buffer
      - .offset:         64
        .size:           1
        .value_kind:     by_value
      - .offset:         65
        .size:           1
        .value_kind:     by_value
    .group_segment_fixed_size: 12288
    .kernarg_segment_align: 8
    .kernarg_segment_size: 68
    .language:       OpenCL C
    .language_version:
      - 2
      - 0
    .max_flat_workgroup_size: 256
    .name:           _ZN7rocprim17ROCPRIM_304000_NS6detail20lookback_scan_kernelILNS1_25lookback_scan_determinismE0ELb0ENS1_19wrapped_scan_configINS0_14default_configEsEEPKsPsSt10multipliesIsEssNS1_19lookback_scan_stateIsLb0ELb1EEEEEvT2_T3_mT5_T4_T7_jPT6_SK_bb
    .private_segment_fixed_size: 0
    .sgpr_count:     32
    .sgpr_spill_count: 0
    .symbol:         _ZN7rocprim17ROCPRIM_304000_NS6detail20lookback_scan_kernelILNS1_25lookback_scan_determinismE0ELb0ENS1_19wrapped_scan_configINS0_14default_configEsEEPKsPsSt10multipliesIsEssNS1_19lookback_scan_stateIsLb0ELb1EEEEEvT2_T3_mT5_T4_T7_jPT6_SK_bb.kd
    .uniform_work_group_size: 1
    .uses_dynamic_stack: false
    .vgpr_count:     55
    .vgpr_spill_count: 0
    .wavefront_size: 64
  - .agpr_count:     0
    .args:
      - .address_space:  global
        .offset:         0
        .size:           8
        .value_kind:     global_buffer
      - .offset:         8
        .size:           8
        .value_kind:     by_value
      - .address_space:  global
        .offset:         16
        .size:           8
        .value_kind:     global_buffer
      - .offset:         24
        .size:           1
        .value_kind:     by_value
      - .offset:         32
        .size:           4
        .value_kind:     hidden_block_count_x
      - .offset:         36
        .size:           4
        .value_kind:     hidden_block_count_y
      - .offset:         40
        .size:           4
        .value_kind:     hidden_block_count_z
      - .offset:         44
        .size:           2
        .value_kind:     hidden_group_size_x
      - .offset:         46
        .size:           2
        .value_kind:     hidden_group_size_y
      - .offset:         48
        .size:           2
        .value_kind:     hidden_group_size_z
      - .offset:         50
        .size:           2
        .value_kind:     hidden_remainder_x
      - .offset:         52
        .size:           2
        .value_kind:     hidden_remainder_y
      - .offset:         54
        .size:           2
        .value_kind:     hidden_remainder_z
      - .offset:         72
        .size:           8
        .value_kind:     hidden_global_offset_x
      - .offset:         80
        .size:           8
        .value_kind:     hidden_global_offset_y
      - .offset:         88
        .size:           8
        .value_kind:     hidden_global_offset_z
      - .offset:         96
        .size:           2
        .value_kind:     hidden_grid_dims
    .group_segment_fixed_size: 0
    .kernarg_segment_align: 8
    .kernarg_segment_size: 288
    .language:       OpenCL C
    .language_version:
      - 2
      - 0
    .max_flat_workgroup_size: 256
    .name:           _ZN7rocprim17ROCPRIM_304000_NS6detail16transform_kernelINS1_24wrapped_transform_configINS0_14default_configEsEEsPsS6_NS0_8identityIsEEEEvT1_mT2_T3_
    .private_segment_fixed_size: 0
    .sgpr_count:     29
    .sgpr_spill_count: 0
    .symbol:         _ZN7rocprim17ROCPRIM_304000_NS6detail16transform_kernelINS1_24wrapped_transform_configINS0_14default_configEsEEsPsS6_NS0_8identityIsEEEEvT1_mT2_T3_.kd
    .uniform_work_group_size: 1
    .uses_dynamic_stack: false
    .vgpr_count:     12
    .vgpr_spill_count: 0
    .wavefront_size: 64
  - .agpr_count:     0
    .args:
      - .address_space:  global
        .offset:         0
        .size:           8
        .value_kind:     global_buffer
      - .offset:         8
        .size:           8
        .value_kind:     by_value
      - .offset:         16
        .size:           2
        .value_kind:     by_value
      - .address_space:  global
        .offset:         24
        .size:           8
        .value_kind:     global_buffer
      - .offset:         32
        .size:           1
        .value_kind:     by_value
    .group_segment_fixed_size: 12288
    .kernarg_segment_align: 8
    .kernarg_segment_size: 36
    .language:       OpenCL C
    .language_version:
      - 2
      - 0
    .max_flat_workgroup_size: 256
    .name:           _ZN7rocprim17ROCPRIM_304000_NS6detail18single_scan_kernelILb0ENS1_19wrapped_scan_configINS0_14default_configEsEEPKsPsSt10multipliesIsEssEEvT1_mT4_T2_T3_
    .private_segment_fixed_size: 0
    .sgpr_count:     60
    .sgpr_spill_count: 0
    .symbol:         _ZN7rocprim17ROCPRIM_304000_NS6detail18single_scan_kernelILb0ENS1_19wrapped_scan_configINS0_14default_configEsEEPKsPsSt10multipliesIsEssEEvT1_mT4_T2_T3_.kd
    .uniform_work_group_size: 1
    .uses_dynamic_stack: false
    .vgpr_count:     30
    .vgpr_spill_count: 0
    .wavefront_size: 64
  - .agpr_count:     0
    .args:
      - .address_space:  global
        .offset:         0
        .size:           8
        .value_kind:     global_buffer
      - .address_space:  global
        .offset:         8
        .size:           8
        .value_kind:     global_buffer
      - .offset:         16
        .size:           4
        .value_kind:     by_value
      - .offset:         20
        .size:           4
        .value_kind:     by_value
      - .offset:         24
        .size:           4
        .value_kind:     by_value
      - .offset:         28
        .size:           2
        .value_kind:     by_value
      - .offset:         30
        .size:           1
        .value_kind:     by_value
      - .offset:         32
        .size:           4
        .value_kind:     hidden_block_count_x
      - .offset:         36
        .size:           4
        .value_kind:     hidden_block_count_y
      - .offset:         40
        .size:           4
        .value_kind:     hidden_block_count_z
      - .offset:         44
        .size:           2
        .value_kind:     hidden_group_size_x
      - .offset:         46
        .size:           2
        .value_kind:     hidden_group_size_y
      - .offset:         48
        .size:           2
        .value_kind:     hidden_group_size_z
      - .offset:         50
        .size:           2
        .value_kind:     hidden_remainder_x
      - .offset:         52
        .size:           2
        .value_kind:     hidden_remainder_y
      - .offset:         54
        .size:           2
        .value_kind:     hidden_remainder_z
      - .offset:         72
        .size:           8
        .value_kind:     hidden_global_offset_x
      - .offset:         80
        .size:           8
        .value_kind:     hidden_global_offset_y
      - .offset:         88
        .size:           8
        .value_kind:     hidden_global_offset_z
      - .offset:         96
        .size:           2
        .value_kind:     hidden_grid_dims
      - .offset:         152
        .size:           4
        .value_kind:     hidden_dynamic_lds_size
    .group_segment_fixed_size: 0
    .kernarg_segment_align: 8
    .kernarg_segment_size: 288
    .language:       OpenCL C
    .language_version:
      - 2
      - 0
    .max_flat_workgroup_size: 1024
    .name:           _ZN2at6native32tensor_kernel_scan_innermost_dimIsSt10multipliesIsEEEvPT_PKS4_jjjS4_T0_
    .private_segment_fixed_size: 0
    .sgpr_count:     40
    .sgpr_spill_count: 0
    .symbol:         _ZN2at6native32tensor_kernel_scan_innermost_dimIsSt10multipliesIsEEEvPT_PKS4_jjjS4_T0_.kd
    .uniform_work_group_size: 1
    .uses_dynamic_stack: false
    .vgpr_count:     24
    .vgpr_spill_count: 0
    .wavefront_size: 64
  - .agpr_count:     0
    .args:
      - .address_space:  global
        .offset:         0
        .size:           8
        .value_kind:     global_buffer
      - .address_space:  global
        .offset:         8
        .size:           8
        .value_kind:     global_buffer
      - .offset:         16
        .size:           4
        .value_kind:     by_value
      - .offset:         20
        .size:           4
        .value_kind:     by_value
      - .offset:         24
        .size:           4
        .value_kind:     by_value
      - .offset:         28
        .size:           2
        .value_kind:     by_value
      - .offset:         30
        .size:           1
        .value_kind:     by_value
      - .offset:         32
        .size:           4
        .value_kind:     hidden_block_count_x
      - .offset:         36
        .size:           4
        .value_kind:     hidden_block_count_y
      - .offset:         40
        .size:           4
        .value_kind:     hidden_block_count_z
      - .offset:         44
        .size:           2
        .value_kind:     hidden_group_size_x
      - .offset:         46
        .size:           2
        .value_kind:     hidden_group_size_y
      - .offset:         48
        .size:           2
        .value_kind:     hidden_group_size_z
      - .offset:         50
        .size:           2
        .value_kind:     hidden_remainder_x
      - .offset:         52
        .size:           2
        .value_kind:     hidden_remainder_y
      - .offset:         54
        .size:           2
        .value_kind:     hidden_remainder_z
      - .offset:         72
        .size:           8
        .value_kind:     hidden_global_offset_x
      - .offset:         80
        .size:           8
        .value_kind:     hidden_global_offset_y
      - .offset:         88
        .size:           8
        .value_kind:     hidden_global_offset_z
      - .offset:         96
        .size:           2
        .value_kind:     hidden_grid_dims
    .group_segment_fixed_size: 0
    .kernarg_segment_align: 8
    .kernarg_segment_size: 288
    .language:       OpenCL C
    .language_version:
      - 2
      - 0
    .max_flat_workgroup_size: 1024
    .name:           _ZN2at6native28tensor_kernel_scan_outer_dimIsjSt10multipliesIsEEEvPT_PKS4_jjjS4_T1_
    .private_segment_fixed_size: 0
    .sgpr_count:     36
    .sgpr_spill_count: 0
    .symbol:         _ZN2at6native28tensor_kernel_scan_outer_dimIsjSt10multipliesIsEEEvPT_PKS4_jjjS4_T1_.kd
    .uniform_work_group_size: 1
    .uses_dynamic_stack: false
    .vgpr_count:     9
    .vgpr_spill_count: 0
    .wavefront_size: 64
  - .agpr_count:     0
    .args:
      - .address_space:  global
        .offset:         0
        .size:           8
        .value_kind:     global_buffer
      - .address_space:  global
        .offset:         8
        .size:           8
        .value_kind:     global_buffer
      - .offset:         16
        .size:           4
        .value_kind:     by_value
      - .offset:         20
        .size:           4
        .value_kind:     by_value
      - .offset:         24
        .size:           4
        .value_kind:     by_value
      - .offset:         28
        .size:           2
        .value_kind:     by_value
      - .offset:         30
        .size:           1
        .value_kind:     by_value
      - .offset:         32
        .size:           4
        .value_kind:     hidden_block_count_x
      - .offset:         36
        .size:           4
        .value_kind:     hidden_block_count_y
      - .offset:         40
        .size:           4
        .value_kind:     hidden_block_count_z
      - .offset:         44
        .size:           2
        .value_kind:     hidden_group_size_x
      - .offset:         46
        .size:           2
        .value_kind:     hidden_group_size_y
      - .offset:         48
        .size:           2
        .value_kind:     hidden_group_size_z
      - .offset:         50
        .size:           2
        .value_kind:     hidden_remainder_x
      - .offset:         52
        .size:           2
        .value_kind:     hidden_remainder_y
      - .offset:         54
        .size:           2
        .value_kind:     hidden_remainder_z
      - .offset:         72
        .size:           8
        .value_kind:     hidden_global_offset_x
      - .offset:         80
        .size:           8
        .value_kind:     hidden_global_offset_y
      - .offset:         88
        .size:           8
        .value_kind:     hidden_global_offset_z
      - .offset:         96
        .size:           2
        .value_kind:     hidden_grid_dims
    .group_segment_fixed_size: 0
    .kernarg_segment_align: 8
    .kernarg_segment_size: 288
    .language:       OpenCL C
    .language_version:
      - 2
      - 0
    .max_flat_workgroup_size: 1024
    .name:           _ZN2at6native28tensor_kernel_scan_outer_dimIsmSt10multipliesIsEEEvPT_PKS4_jjjS4_T1_
    .private_segment_fixed_size: 0
    .sgpr_count:     35
    .sgpr_spill_count: 0
    .symbol:         _ZN2at6native28tensor_kernel_scan_outer_dimIsmSt10multipliesIsEEEvPT_PKS4_jjjS4_T1_.kd
    .uniform_work_group_size: 1
    .uses_dynamic_stack: false
    .vgpr_count:     9
    .vgpr_spill_count: 0
    .wavefront_size: 64
  - .agpr_count:     0
    .args:
      - .address_space:  global
        .offset:         0
        .size:           8
        .value_kind:     global_buffer
      - .offset:         8
        .size:           4
        .value_kind:     by_value
      - .offset:         12
        .size:           4
        .value_kind:     by_value
      - .address_space:  global
        .offset:         16
        .size:           8
        .value_kind:     global_buffer
      - .offset:         24
        .size:           4
        .value_kind:     hidden_block_count_x
      - .offset:         28
        .size:           4
        .value_kind:     hidden_block_count_y
      - .offset:         32
        .size:           4
        .value_kind:     hidden_block_count_z
      - .offset:         36
        .size:           2
        .value_kind:     hidden_group_size_x
      - .offset:         38
        .size:           2
        .value_kind:     hidden_group_size_y
      - .offset:         40
        .size:           2
        .value_kind:     hidden_group_size_z
      - .offset:         42
        .size:           2
        .value_kind:     hidden_remainder_x
      - .offset:         44
        .size:           2
        .value_kind:     hidden_remainder_y
      - .offset:         46
        .size:           2
        .value_kind:     hidden_remainder_z
      - .offset:         64
        .size:           8
        .value_kind:     hidden_global_offset_x
      - .offset:         72
        .size:           8
        .value_kind:     hidden_global_offset_y
      - .offset:         80
        .size:           8
        .value_kind:     hidden_global_offset_z
      - .offset:         88
        .size:           2
        .value_kind:     hidden_grid_dims
    .group_segment_fixed_size: 0
    .kernarg_segment_align: 8
    .kernarg_segment_size: 280
    .language:       OpenCL C
    .language_version:
      - 2
      - 0
    .max_flat_workgroup_size: 256
    .name:           _ZN7rocprim17ROCPRIM_304000_NS6detail31init_lookback_scan_state_kernelINS1_19lookback_scan_stateIdLb1ELb1EEEEEvT_jjPNS5_10value_typeE
    .private_segment_fixed_size: 0
    .sgpr_count:     20
    .sgpr_spill_count: 0
    .symbol:         _ZN7rocprim17ROCPRIM_304000_NS6detail31init_lookback_scan_state_kernelINS1_19lookback_scan_stateIdLb1ELb1EEEEEvT_jjPNS5_10value_typeE.kd
    .uniform_work_group_size: 1
    .uses_dynamic_stack: false
    .vgpr_count:     10
    .vgpr_spill_count: 0
    .wavefront_size: 64
  - .agpr_count:     0
    .args:
      - .address_space:  global
        .offset:         0
        .size:           8
        .value_kind:     global_buffer
      - .offset:         8
        .size:           4
        .value_kind:     by_value
      - .offset:         12
        .size:           4
        .value_kind:     by_value
      - .address_space:  global
        .offset:         16
        .size:           8
        .value_kind:     global_buffer
      - .offset:         24
        .size:           4
        .value_kind:     hidden_block_count_x
      - .offset:         28
        .size:           4
        .value_kind:     hidden_block_count_y
      - .offset:         32
        .size:           4
        .value_kind:     hidden_block_count_z
      - .offset:         36
        .size:           2
        .value_kind:     hidden_group_size_x
      - .offset:         38
        .size:           2
        .value_kind:     hidden_group_size_y
      - .offset:         40
        .size:           2
        .value_kind:     hidden_group_size_z
      - .offset:         42
        .size:           2
        .value_kind:     hidden_remainder_x
      - .offset:         44
        .size:           2
        .value_kind:     hidden_remainder_y
      - .offset:         46
        .size:           2
        .value_kind:     hidden_remainder_z
      - .offset:         64
        .size:           8
        .value_kind:     hidden_global_offset_x
      - .offset:         72
        .size:           8
        .value_kind:     hidden_global_offset_y
      - .offset:         80
        .size:           8
        .value_kind:     hidden_global_offset_z
      - .offset:         88
        .size:           2
        .value_kind:     hidden_grid_dims
    .group_segment_fixed_size: 0
    .kernarg_segment_align: 8
    .kernarg_segment_size: 280
    .language:       OpenCL C
    .language_version:
      - 2
      - 0
    .max_flat_workgroup_size: 256
    .name:           _ZN7rocprim17ROCPRIM_304000_NS6detail31init_lookback_scan_state_kernelINS1_19lookback_scan_stateIdLb0ELb1EEEEEvT_jjPNS5_10value_typeE
    .private_segment_fixed_size: 0
    .sgpr_count:     20
    .sgpr_spill_count: 0
    .symbol:         _ZN7rocprim17ROCPRIM_304000_NS6detail31init_lookback_scan_state_kernelINS1_19lookback_scan_stateIdLb0ELb1EEEEEvT_jjPNS5_10value_typeE.kd
    .uniform_work_group_size: 1
    .uses_dynamic_stack: false
    .vgpr_count:     10
    .vgpr_spill_count: 0
    .wavefront_size: 64
  - .agpr_count:     0
    .args:
      - .address_space:  global
        .offset:         0
        .size:           8
        .value_kind:     global_buffer
      - .address_space:  global
        .offset:         8
        .size:           8
        .value_kind:     global_buffer
      - .offset:         16
        .size:           8
        .value_kind:     by_value
      - .offset:         24
        .size:           8
        .value_kind:     by_value
      - .offset:         32
        .size:           1
        .value_kind:     by_value
      - .address_space:  global
        .offset:         40
        .size:           8
        .value_kind:     global_buffer
      - .offset:         48
        .size:           4
        .value_kind:     by_value
      - .address_space:  global
        .offset:         56
        .size:           8
        .value_kind:     global_buffer
      - .address_space:  global
        .offset:         64
        .size:           8
        .value_kind:     global_buffer
      - .offset:         72
        .size:           1
        .value_kind:     by_value
      - .offset:         73
        .size:           1
        .value_kind:     by_value
    .group_segment_fixed_size: 0
    .kernarg_segment_align: 8
    .kernarg_segment_size: 76
    .language:       OpenCL C
    .language_version:
      - 2
      - 0
    .max_flat_workgroup_size: 256
    .name:           _ZN7rocprim17ROCPRIM_304000_NS6detail20lookback_scan_kernelILNS1_25lookback_scan_determinismE0ELb0ENS1_19wrapped_scan_configINS0_14default_configEdEEPKdPdSt10multipliesIdEddNS1_19lookback_scan_stateIdLb1ELb1EEEEEvT2_T3_mT5_T4_T7_jPT6_SK_bb
    .private_segment_fixed_size: 0
    .sgpr_count:     6
    .sgpr_spill_count: 0
    .symbol:         _ZN7rocprim17ROCPRIM_304000_NS6detail20lookback_scan_kernelILNS1_25lookback_scan_determinismE0ELb0ENS1_19wrapped_scan_configINS0_14default_configEdEEPKdPdSt10multipliesIdEddNS1_19lookback_scan_stateIdLb1ELb1EEEEEvT2_T3_mT5_T4_T7_jPT6_SK_bb.kd
    .uniform_work_group_size: 1
    .uses_dynamic_stack: false
    .vgpr_count:     0
    .vgpr_spill_count: 0
    .wavefront_size: 64
  - .agpr_count:     0
    .args:
      - .address_space:  global
        .offset:         0
        .size:           8
        .value_kind:     global_buffer
      - .address_space:  global
        .offset:         8
        .size:           8
        .value_kind:     global_buffer
      - .offset:         16
        .size:           8
        .value_kind:     by_value
      - .offset:         24
        .size:           8
        .value_kind:     by_value
      - .offset:         32
        .size:           1
        .value_kind:     by_value
      - .address_space:  global
        .offset:         40
        .size:           8
        .value_kind:     global_buffer
      - .offset:         48
        .size:           4
        .value_kind:     by_value
      - .address_space:  global
        .offset:         56
        .size:           8
        .value_kind:     global_buffer
      - .address_space:  global
        .offset:         64
        .size:           8
        .value_kind:     global_buffer
      - .offset:         72
        .size:           1
        .value_kind:     by_value
      - .offset:         73
        .size:           1
        .value_kind:     by_value
    .group_segment_fixed_size: 30720
    .kernarg_segment_align: 8
    .kernarg_segment_size: 76
    .language:       OpenCL C
    .language_version:
      - 2
      - 0
    .max_flat_workgroup_size: 256
    .name:           _ZN7rocprim17ROCPRIM_304000_NS6detail20lookback_scan_kernelILNS1_25lookback_scan_determinismE0ELb0ENS1_19wrapped_scan_configINS0_14default_configEdEEPKdPdSt10multipliesIdEddNS1_19lookback_scan_stateIdLb0ELb1EEEEEvT2_T3_mT5_T4_T7_jPT6_SK_bb
    .private_segment_fixed_size: 0
    .sgpr_count:     74
    .sgpr_spill_count: 0
    .symbol:         _ZN7rocprim17ROCPRIM_304000_NS6detail20lookback_scan_kernelILNS1_25lookback_scan_determinismE0ELb0ENS1_19wrapped_scan_configINS0_14default_configEdEEPKdPdSt10multipliesIdEddNS1_19lookback_scan_stateIdLb0ELb1EEEEEvT2_T3_mT5_T4_T7_jPT6_SK_bb.kd
    .uniform_work_group_size: 1
    .uses_dynamic_stack: false
    .vgpr_count:     67
    .vgpr_spill_count: 0
    .wavefront_size: 64
  - .agpr_count:     0
    .args:
      - .address_space:  global
        .offset:         0
        .size:           8
        .value_kind:     global_buffer
      - .offset:         8
        .size:           8
        .value_kind:     by_value
      - .address_space:  global
        .offset:         16
        .size:           8
        .value_kind:     global_buffer
      - .offset:         24
        .size:           1
        .value_kind:     by_value
      - .offset:         32
        .size:           4
        .value_kind:     hidden_block_count_x
      - .offset:         36
        .size:           4
        .value_kind:     hidden_block_count_y
      - .offset:         40
        .size:           4
        .value_kind:     hidden_block_count_z
      - .offset:         44
        .size:           2
        .value_kind:     hidden_group_size_x
      - .offset:         46
        .size:           2
        .value_kind:     hidden_group_size_y
      - .offset:         48
        .size:           2
        .value_kind:     hidden_group_size_z
      - .offset:         50
        .size:           2
        .value_kind:     hidden_remainder_x
      - .offset:         52
        .size:           2
        .value_kind:     hidden_remainder_y
      - .offset:         54
        .size:           2
        .value_kind:     hidden_remainder_z
      - .offset:         72
        .size:           8
        .value_kind:     hidden_global_offset_x
      - .offset:         80
        .size:           8
        .value_kind:     hidden_global_offset_y
      - .offset:         88
        .size:           8
        .value_kind:     hidden_global_offset_z
      - .offset:         96
        .size:           2
        .value_kind:     hidden_grid_dims
    .group_segment_fixed_size: 0
    .kernarg_segment_align: 8
    .kernarg_segment_size: 288
    .language:       OpenCL C
    .language_version:
      - 2
      - 0
    .max_flat_workgroup_size: 1024
    .name:           _ZN7rocprim17ROCPRIM_304000_NS6detail16transform_kernelINS1_24wrapped_transform_configINS0_14default_configEdEEdPdS6_NS0_8identityIdEEEEvT1_mT2_T3_
    .private_segment_fixed_size: 0
    .sgpr_count:     20
    .sgpr_spill_count: 0
    .symbol:         _ZN7rocprim17ROCPRIM_304000_NS6detail16transform_kernelINS1_24wrapped_transform_configINS0_14default_configEdEEdPdS6_NS0_8identityIdEEEEvT1_mT2_T3_.kd
    .uniform_work_group_size: 1
    .uses_dynamic_stack: false
    .vgpr_count:     18
    .vgpr_spill_count: 0
    .wavefront_size: 64
  - .agpr_count:     0
    .args:
      - .address_space:  global
        .offset:         0
        .size:           8
        .value_kind:     global_buffer
      - .offset:         8
        .size:           8
        .value_kind:     by_value
      - .offset:         16
        .size:           8
        .value_kind:     by_value
      - .address_space:  global
        .offset:         24
        .size:           8
        .value_kind:     global_buffer
      - .offset:         32
        .size:           1
        .value_kind:     by_value
    .group_segment_fixed_size: 30720
    .kernarg_segment_align: 8
    .kernarg_segment_size: 36
    .language:       OpenCL C
    .language_version:
      - 2
      - 0
    .max_flat_workgroup_size: 256
    .name:           _ZN7rocprim17ROCPRIM_304000_NS6detail18single_scan_kernelILb0ENS1_19wrapped_scan_configINS0_14default_configEdEEPKdPdSt10multipliesIdEddEEvT1_mT4_T2_T3_
    .private_segment_fixed_size: 0
    .sgpr_count:     74
    .sgpr_spill_count: 0
    .symbol:         _ZN7rocprim17ROCPRIM_304000_NS6detail18single_scan_kernelILb0ENS1_19wrapped_scan_configINS0_14default_configEdEEPKdPdSt10multipliesIdEddEEvT1_mT4_T2_T3_.kd
    .uniform_work_group_size: 1
    .uses_dynamic_stack: false
    .vgpr_count:     50
    .vgpr_spill_count: 0
    .wavefront_size: 64
  - .agpr_count:     0
    .args:
      - .address_space:  global
        .offset:         0
        .size:           8
        .value_kind:     global_buffer
      - .address_space:  global
        .offset:         8
        .size:           8
        .value_kind:     global_buffer
      - .offset:         16
        .size:           4
        .value_kind:     by_value
      - .offset:         20
        .size:           4
        .value_kind:     by_value
      - .offset:         24
        .size:           4
        .value_kind:     by_value
      - .offset:         32
        .size:           8
        .value_kind:     by_value
      - .offset:         40
        .size:           1
        .value_kind:     by_value
      - .offset:         48
        .size:           4
        .value_kind:     hidden_block_count_x
      - .offset:         52
        .size:           4
        .value_kind:     hidden_block_count_y
      - .offset:         56
        .size:           4
        .value_kind:     hidden_block_count_z
      - .offset:         60
        .size:           2
        .value_kind:     hidden_group_size_x
      - .offset:         62
        .size:           2
        .value_kind:     hidden_group_size_y
      - .offset:         64
        .size:           2
        .value_kind:     hidden_group_size_z
      - .offset:         66
        .size:           2
        .value_kind:     hidden_remainder_x
      - .offset:         68
        .size:           2
        .value_kind:     hidden_remainder_y
      - .offset:         70
        .size:           2
        .value_kind:     hidden_remainder_z
      - .offset:         88
        .size:           8
        .value_kind:     hidden_global_offset_x
      - .offset:         96
        .size:           8
        .value_kind:     hidden_global_offset_y
      - .offset:         104
        .size:           8
        .value_kind:     hidden_global_offset_z
      - .offset:         112
        .size:           2
        .value_kind:     hidden_grid_dims
      - .offset:         168
        .size:           4
        .value_kind:     hidden_dynamic_lds_size
    .group_segment_fixed_size: 0
    .kernarg_segment_align: 8
    .kernarg_segment_size: 304
    .language:       OpenCL C
    .language_version:
      - 2
      - 0
    .max_flat_workgroup_size: 1024
    .name:           _ZN2at6native32tensor_kernel_scan_innermost_dimIdSt10multipliesIdEEEvPT_PKS4_jjjS4_T0_
    .private_segment_fixed_size: 0
    .sgpr_count:     41
    .sgpr_spill_count: 0
    .symbol:         _ZN2at6native32tensor_kernel_scan_innermost_dimIdSt10multipliesIdEEEvPT_PKS4_jjjS4_T0_.kd
    .uniform_work_group_size: 1
    .uses_dynamic_stack: false
    .vgpr_count:     24
    .vgpr_spill_count: 0
    .wavefront_size: 64
  - .agpr_count:     0
    .args:
      - .address_space:  global
        .offset:         0
        .size:           8
        .value_kind:     global_buffer
      - .address_space:  global
        .offset:         8
        .size:           8
        .value_kind:     global_buffer
      - .offset:         16
        .size:           4
        .value_kind:     by_value
      - .offset:         20
        .size:           4
        .value_kind:     by_value
      - .offset:         24
        .size:           4
        .value_kind:     by_value
      - .offset:         32
        .size:           8
        .value_kind:     by_value
      - .offset:         40
        .size:           1
        .value_kind:     by_value
      - .offset:         48
        .size:           4
        .value_kind:     hidden_block_count_x
      - .offset:         52
        .size:           4
        .value_kind:     hidden_block_count_y
      - .offset:         56
        .size:           4
        .value_kind:     hidden_block_count_z
      - .offset:         60
        .size:           2
        .value_kind:     hidden_group_size_x
      - .offset:         62
        .size:           2
        .value_kind:     hidden_group_size_y
      - .offset:         64
        .size:           2
        .value_kind:     hidden_group_size_z
      - .offset:         66
        .size:           2
        .value_kind:     hidden_remainder_x
      - .offset:         68
        .size:           2
        .value_kind:     hidden_remainder_y
      - .offset:         70
        .size:           2
        .value_kind:     hidden_remainder_z
      - .offset:         88
        .size:           8
        .value_kind:     hidden_global_offset_x
      - .offset:         96
        .size:           8
        .value_kind:     hidden_global_offset_y
      - .offset:         104
        .size:           8
        .value_kind:     hidden_global_offset_z
      - .offset:         112
        .size:           2
        .value_kind:     hidden_grid_dims
    .group_segment_fixed_size: 0
    .kernarg_segment_align: 8
    .kernarg_segment_size: 304
    .language:       OpenCL C
    .language_version:
      - 2
      - 0
    .max_flat_workgroup_size: 1024
    .name:           _ZN2at6native28tensor_kernel_scan_outer_dimIdjSt10multipliesIdEEEvPT_PKS4_jjjS4_T1_
    .private_segment_fixed_size: 0
    .sgpr_count:     37
    .sgpr_spill_count: 0
    .symbol:         _ZN2at6native28tensor_kernel_scan_outer_dimIdjSt10multipliesIdEEEvPT_PKS4_jjjS4_T1_.kd
    .uniform_work_group_size: 1
    .uses_dynamic_stack: false
    .vgpr_count:     12
    .vgpr_spill_count: 0
    .wavefront_size: 64
  - .agpr_count:     0
    .args:
      - .address_space:  global
        .offset:         0
        .size:           8
        .value_kind:     global_buffer
      - .address_space:  global
        .offset:         8
        .size:           8
        .value_kind:     global_buffer
      - .offset:         16
        .size:           4
        .value_kind:     by_value
      - .offset:         20
        .size:           4
        .value_kind:     by_value
      - .offset:         24
        .size:           4
        .value_kind:     by_value
      - .offset:         32
        .size:           8
        .value_kind:     by_value
      - .offset:         40
        .size:           1
        .value_kind:     by_value
      - .offset:         48
        .size:           4
        .value_kind:     hidden_block_count_x
      - .offset:         52
        .size:           4
        .value_kind:     hidden_block_count_y
      - .offset:         56
        .size:           4
        .value_kind:     hidden_block_count_z
      - .offset:         60
        .size:           2
        .value_kind:     hidden_group_size_x
      - .offset:         62
        .size:           2
        .value_kind:     hidden_group_size_y
      - .offset:         64
        .size:           2
        .value_kind:     hidden_group_size_z
      - .offset:         66
        .size:           2
        .value_kind:     hidden_remainder_x
      - .offset:         68
        .size:           2
        .value_kind:     hidden_remainder_y
      - .offset:         70
        .size:           2
        .value_kind:     hidden_remainder_z
      - .offset:         88
        .size:           8
        .value_kind:     hidden_global_offset_x
      - .offset:         96
        .size:           8
        .value_kind:     hidden_global_offset_y
      - .offset:         104
        .size:           8
        .value_kind:     hidden_global_offset_z
      - .offset:         112
        .size:           2
        .value_kind:     hidden_grid_dims
    .group_segment_fixed_size: 0
    .kernarg_segment_align: 8
    .kernarg_segment_size: 304
    .language:       OpenCL C
    .language_version:
      - 2
      - 0
    .max_flat_workgroup_size: 1024
    .name:           _ZN2at6native28tensor_kernel_scan_outer_dimIdmSt10multipliesIdEEEvPT_PKS4_jjjS4_T1_
    .private_segment_fixed_size: 0
    .sgpr_count:     36
    .sgpr_spill_count: 0
    .symbol:         _ZN2at6native28tensor_kernel_scan_outer_dimIdmSt10multipliesIdEEEvPT_PKS4_jjjS4_T1_.kd
    .uniform_work_group_size: 1
    .uses_dynamic_stack: false
    .vgpr_count:     12
    .vgpr_spill_count: 0
    .wavefront_size: 64
  - .agpr_count:     0
    .args:
      - .address_space:  global
        .offset:         0
        .size:           8
        .value_kind:     global_buffer
      - .offset:         8
        .size:           4
        .value_kind:     by_value
      - .offset:         12
        .size:           4
        .value_kind:     by_value
      - .address_space:  global
        .offset:         16
        .size:           8
        .value_kind:     global_buffer
      - .offset:         24
        .size:           4
        .value_kind:     hidden_block_count_x
      - .offset:         28
        .size:           4
        .value_kind:     hidden_block_count_y
      - .offset:         32
        .size:           4
        .value_kind:     hidden_block_count_z
      - .offset:         36
        .size:           2
        .value_kind:     hidden_group_size_x
      - .offset:         38
        .size:           2
        .value_kind:     hidden_group_size_y
      - .offset:         40
        .size:           2
        .value_kind:     hidden_group_size_z
      - .offset:         42
        .size:           2
        .value_kind:     hidden_remainder_x
      - .offset:         44
        .size:           2
        .value_kind:     hidden_remainder_y
      - .offset:         46
        .size:           2
        .value_kind:     hidden_remainder_z
      - .offset:         64
        .size:           8
        .value_kind:     hidden_global_offset_x
      - .offset:         72
        .size:           8
        .value_kind:     hidden_global_offset_y
      - .offset:         80
        .size:           8
        .value_kind:     hidden_global_offset_z
      - .offset:         88
        .size:           2
        .value_kind:     hidden_grid_dims
    .group_segment_fixed_size: 0
    .kernarg_segment_align: 8
    .kernarg_segment_size: 280
    .language:       OpenCL C
    .language_version:
      - 2
      - 0
    .max_flat_workgroup_size: 256
    .name:           _ZN7rocprim17ROCPRIM_304000_NS6detail31init_lookback_scan_state_kernelINS1_19lookback_scan_stateIfLb1ELb1EEEEEvT_jjPNS5_10value_typeE
    .private_segment_fixed_size: 0
    .sgpr_count:     18
    .sgpr_spill_count: 0
    .symbol:         _ZN7rocprim17ROCPRIM_304000_NS6detail31init_lookback_scan_state_kernelINS1_19lookback_scan_stateIfLb1ELb1EEEEEvT_jjPNS5_10value_typeE.kd
    .uniform_work_group_size: 1
    .uses_dynamic_stack: false
    .vgpr_count:     6
    .vgpr_spill_count: 0
    .wavefront_size: 64
  - .agpr_count:     0
    .args:
      - .address_space:  global
        .offset:         0
        .size:           8
        .value_kind:     global_buffer
      - .offset:         8
        .size:           4
        .value_kind:     by_value
      - .offset:         12
        .size:           4
        .value_kind:     by_value
      - .address_space:  global
        .offset:         16
        .size:           8
        .value_kind:     global_buffer
      - .offset:         24
        .size:           4
        .value_kind:     hidden_block_count_x
      - .offset:         28
        .size:           4
        .value_kind:     hidden_block_count_y
      - .offset:         32
        .size:           4
        .value_kind:     hidden_block_count_z
      - .offset:         36
        .size:           2
        .value_kind:     hidden_group_size_x
      - .offset:         38
        .size:           2
        .value_kind:     hidden_group_size_y
      - .offset:         40
        .size:           2
        .value_kind:     hidden_group_size_z
      - .offset:         42
        .size:           2
        .value_kind:     hidden_remainder_x
      - .offset:         44
        .size:           2
        .value_kind:     hidden_remainder_y
      - .offset:         46
        .size:           2
        .value_kind:     hidden_remainder_z
      - .offset:         64
        .size:           8
        .value_kind:     hidden_global_offset_x
      - .offset:         72
        .size:           8
        .value_kind:     hidden_global_offset_y
      - .offset:         80
        .size:           8
        .value_kind:     hidden_global_offset_z
      - .offset:         88
        .size:           2
        .value_kind:     hidden_grid_dims
    .group_segment_fixed_size: 0
    .kernarg_segment_align: 8
    .kernarg_segment_size: 280
    .language:       OpenCL C
    .language_version:
      - 2
      - 0
    .max_flat_workgroup_size: 256
    .name:           _ZN7rocprim17ROCPRIM_304000_NS6detail31init_lookback_scan_state_kernelINS1_19lookback_scan_stateIfLb0ELb1EEEEEvT_jjPNS5_10value_typeE
    .private_segment_fixed_size: 0
    .sgpr_count:     16
    .sgpr_spill_count: 0
    .symbol:         _ZN7rocprim17ROCPRIM_304000_NS6detail31init_lookback_scan_state_kernelINS1_19lookback_scan_stateIfLb0ELb1EEEEEvT_jjPNS5_10value_typeE.kd
    .uniform_work_group_size: 1
    .uses_dynamic_stack: false
    .vgpr_count:     6
    .vgpr_spill_count: 0
    .wavefront_size: 64
  - .agpr_count:     0
    .args:
      - .address_space:  global
        .offset:         0
        .size:           8
        .value_kind:     global_buffer
      - .address_space:  global
        .offset:         8
        .size:           8
        .value_kind:     global_buffer
      - .offset:         16
        .size:           8
        .value_kind:     by_value
      - .offset:         24
        .size:           4
        .value_kind:     by_value
      - .offset:         28
        .size:           1
        .value_kind:     by_value
      - .address_space:  global
        .offset:         32
        .size:           8
        .value_kind:     global_buffer
      - .offset:         40
        .size:           4
        .value_kind:     by_value
      - .address_space:  global
        .offset:         48
        .size:           8
        .value_kind:     global_buffer
      - .address_space:  global
        .offset:         56
        .size:           8
        .value_kind:     global_buffer
      - .offset:         64
        .size:           1
        .value_kind:     by_value
      - .offset:         65
        .size:           1
        .value_kind:     by_value
    .group_segment_fixed_size: 0
    .kernarg_segment_align: 8
    .kernarg_segment_size: 68
    .language:       OpenCL C
    .language_version:
      - 2
      - 0
    .max_flat_workgroup_size: 256
    .name:           _ZN7rocprim17ROCPRIM_304000_NS6detail20lookback_scan_kernelILNS1_25lookback_scan_determinismE0ELb0ENS1_19wrapped_scan_configINS0_14default_configEfEEPKfPfSt10multipliesIfEffNS1_19lookback_scan_stateIfLb1ELb1EEEEEvT2_T3_mT5_T4_T7_jPT6_SK_bb
    .private_segment_fixed_size: 0
    .sgpr_count:     6
    .sgpr_spill_count: 0
    .symbol:         _ZN7rocprim17ROCPRIM_304000_NS6detail20lookback_scan_kernelILNS1_25lookback_scan_determinismE0ELb0ENS1_19wrapped_scan_configINS0_14default_configEfEEPKfPfSt10multipliesIfEffNS1_19lookback_scan_stateIfLb1ELb1EEEEEvT2_T3_mT5_T4_T7_jPT6_SK_bb.kd
    .uniform_work_group_size: 1
    .uses_dynamic_stack: false
    .vgpr_count:     0
    .vgpr_spill_count: 0
    .wavefront_size: 64
  - .agpr_count:     0
    .args:
      - .address_space:  global
        .offset:         0
        .size:           8
        .value_kind:     global_buffer
      - .address_space:  global
        .offset:         8
        .size:           8
        .value_kind:     global_buffer
      - .offset:         16
        .size:           8
        .value_kind:     by_value
      - .offset:         24
        .size:           4
        .value_kind:     by_value
      - .offset:         28
        .size:           1
        .value_kind:     by_value
      - .address_space:  global
        .offset:         32
        .size:           8
        .value_kind:     global_buffer
      - .offset:         40
        .size:           4
        .value_kind:     by_value
      - .address_space:  global
        .offset:         48
        .size:           8
        .value_kind:     global_buffer
      - .address_space:  global
        .offset:         56
        .size:           8
        .value_kind:     global_buffer
      - .offset:         64
        .size:           1
        .value_kind:     by_value
      - .offset:         65
        .size:           1
        .value_kind:     by_value
    .group_segment_fixed_size: 24576
    .kernarg_segment_align: 8
    .kernarg_segment_size: 68
    .language:       OpenCL C
    .language_version:
      - 2
      - 0
    .max_flat_workgroup_size: 256
    .name:           _ZN7rocprim17ROCPRIM_304000_NS6detail20lookback_scan_kernelILNS1_25lookback_scan_determinismE0ELb0ENS1_19wrapped_scan_configINS0_14default_configEfEEPKfPfSt10multipliesIfEffNS1_19lookback_scan_stateIfLb0ELb1EEEEEvT2_T3_mT5_T4_T7_jPT6_SK_bb
    .private_segment_fixed_size: 0
    .sgpr_count:     32
    .sgpr_spill_count: 0
    .symbol:         _ZN7rocprim17ROCPRIM_304000_NS6detail20lookback_scan_kernelILNS1_25lookback_scan_determinismE0ELb0ENS1_19wrapped_scan_configINS0_14default_configEfEEPKfPfSt10multipliesIfEffNS1_19lookback_scan_stateIfLb0ELb1EEEEEvT2_T3_mT5_T4_T7_jPT6_SK_bb.kd
    .uniform_work_group_size: 1
    .uses_dynamic_stack: false
    .vgpr_count:     56
    .vgpr_spill_count: 0
    .wavefront_size: 64
  - .agpr_count:     0
    .args:
      - .address_space:  global
        .offset:         0
        .size:           8
        .value_kind:     global_buffer
      - .offset:         8
        .size:           8
        .value_kind:     by_value
      - .address_space:  global
        .offset:         16
        .size:           8
        .value_kind:     global_buffer
      - .offset:         24
        .size:           1
        .value_kind:     by_value
      - .offset:         32
        .size:           4
        .value_kind:     hidden_block_count_x
      - .offset:         36
        .size:           4
        .value_kind:     hidden_block_count_y
      - .offset:         40
        .size:           4
        .value_kind:     hidden_block_count_z
      - .offset:         44
        .size:           2
        .value_kind:     hidden_group_size_x
      - .offset:         46
        .size:           2
        .value_kind:     hidden_group_size_y
      - .offset:         48
        .size:           2
        .value_kind:     hidden_group_size_z
      - .offset:         50
        .size:           2
        .value_kind:     hidden_remainder_x
      - .offset:         52
        .size:           2
        .value_kind:     hidden_remainder_y
      - .offset:         54
        .size:           2
        .value_kind:     hidden_remainder_z
      - .offset:         72
        .size:           8
        .value_kind:     hidden_global_offset_x
      - .offset:         80
        .size:           8
        .value_kind:     hidden_global_offset_y
      - .offset:         88
        .size:           8
        .value_kind:     hidden_global_offset_z
      - .offset:         96
        .size:           2
        .value_kind:     hidden_grid_dims
    .group_segment_fixed_size: 0
    .kernarg_segment_align: 8
    .kernarg_segment_size: 288
    .language:       OpenCL C
    .language_version:
      - 2
      - 0
    .max_flat_workgroup_size: 256
    .name:           _ZN7rocprim17ROCPRIM_304000_NS6detail16transform_kernelINS1_24wrapped_transform_configINS0_14default_configEfEEfPfS6_NS0_8identityIfEEEEvT1_mT2_T3_
    .private_segment_fixed_size: 0
    .sgpr_count:     20
    .sgpr_spill_count: 0
    .symbol:         _ZN7rocprim17ROCPRIM_304000_NS6detail16transform_kernelINS1_24wrapped_transform_configINS0_14default_configEfEEfPfS6_NS0_8identityIfEEEEvT1_mT2_T3_.kd
    .uniform_work_group_size: 1
    .uses_dynamic_stack: false
    .vgpr_count:     10
    .vgpr_spill_count: 0
    .wavefront_size: 64
  - .agpr_count:     0
    .args:
      - .address_space:  global
        .offset:         0
        .size:           8
        .value_kind:     global_buffer
      - .offset:         8
        .size:           8
        .value_kind:     by_value
      - .offset:         16
        .size:           4
        .value_kind:     by_value
      - .address_space:  global
        .offset:         24
        .size:           8
        .value_kind:     global_buffer
      - .offset:         32
        .size:           1
        .value_kind:     by_value
    .group_segment_fixed_size: 24576
    .kernarg_segment_align: 8
    .kernarg_segment_size: 36
    .language:       OpenCL C
    .language_version:
      - 2
      - 0
    .max_flat_workgroup_size: 256
    .name:           _ZN7rocprim17ROCPRIM_304000_NS6detail18single_scan_kernelILb0ENS1_19wrapped_scan_configINS0_14default_configEfEEPKfPfSt10multipliesIfEffEEvT1_mT4_T2_T3_
    .private_segment_fixed_size: 0
    .sgpr_count:     62
    .sgpr_spill_count: 0
    .symbol:         _ZN7rocprim17ROCPRIM_304000_NS6detail18single_scan_kernelILb0ENS1_19wrapped_scan_configINS0_14default_configEfEEPKfPfSt10multipliesIfEffEEvT1_mT4_T2_T3_.kd
    .uniform_work_group_size: 1
    .uses_dynamic_stack: false
    .vgpr_count:     37
    .vgpr_spill_count: 0
    .wavefront_size: 64
  - .agpr_count:     0
    .args:
      - .address_space:  global
        .offset:         0
        .size:           8
        .value_kind:     global_buffer
      - .address_space:  global
        .offset:         8
        .size:           8
        .value_kind:     global_buffer
      - .offset:         16
        .size:           4
        .value_kind:     by_value
      - .offset:         20
        .size:           4
        .value_kind:     by_value
      - .offset:         24
        .size:           4
        .value_kind:     by_value
      - .offset:         28
        .size:           4
        .value_kind:     by_value
      - .offset:         32
        .size:           1
        .value_kind:     by_value
      - .offset:         40
        .size:           4
        .value_kind:     hidden_block_count_x
      - .offset:         44
        .size:           4
        .value_kind:     hidden_block_count_y
      - .offset:         48
        .size:           4
        .value_kind:     hidden_block_count_z
      - .offset:         52
        .size:           2
        .value_kind:     hidden_group_size_x
      - .offset:         54
        .size:           2
        .value_kind:     hidden_group_size_y
      - .offset:         56
        .size:           2
        .value_kind:     hidden_group_size_z
      - .offset:         58
        .size:           2
        .value_kind:     hidden_remainder_x
      - .offset:         60
        .size:           2
        .value_kind:     hidden_remainder_y
      - .offset:         62
        .size:           2
        .value_kind:     hidden_remainder_z
      - .offset:         80
        .size:           8
        .value_kind:     hidden_global_offset_x
      - .offset:         88
        .size:           8
        .value_kind:     hidden_global_offset_y
      - .offset:         96
        .size:           8
        .value_kind:     hidden_global_offset_z
      - .offset:         104
        .size:           2
        .value_kind:     hidden_grid_dims
      - .offset:         160
        .size:           4
        .value_kind:     hidden_dynamic_lds_size
    .group_segment_fixed_size: 0
    .kernarg_segment_align: 8
    .kernarg_segment_size: 296
    .language:       OpenCL C
    .language_version:
      - 2
      - 0
    .max_flat_workgroup_size: 1024
    .name:           _ZN2at6native32tensor_kernel_scan_innermost_dimIfSt10multipliesIfEEEvPT_PKS4_jjjS4_T0_
    .private_segment_fixed_size: 0
    .sgpr_count:     40
    .sgpr_spill_count: 0
    .symbol:         _ZN2at6native32tensor_kernel_scan_innermost_dimIfSt10multipliesIfEEEvPT_PKS4_jjjS4_T0_.kd
    .uniform_work_group_size: 1
    .uses_dynamic_stack: false
    .vgpr_count:     24
    .vgpr_spill_count: 0
    .wavefront_size: 64
  - .agpr_count:     0
    .args:
      - .address_space:  global
        .offset:         0
        .size:           8
        .value_kind:     global_buffer
      - .address_space:  global
        .offset:         8
        .size:           8
        .value_kind:     global_buffer
      - .offset:         16
        .size:           4
        .value_kind:     by_value
      - .offset:         20
        .size:           4
        .value_kind:     by_value
      - .offset:         24
        .size:           4
        .value_kind:     by_value
      - .offset:         28
        .size:           4
        .value_kind:     by_value
      - .offset:         32
        .size:           1
        .value_kind:     by_value
      - .offset:         40
        .size:           4
        .value_kind:     hidden_block_count_x
      - .offset:         44
        .size:           4
        .value_kind:     hidden_block_count_y
      - .offset:         48
        .size:           4
        .value_kind:     hidden_block_count_z
      - .offset:         52
        .size:           2
        .value_kind:     hidden_group_size_x
      - .offset:         54
        .size:           2
        .value_kind:     hidden_group_size_y
      - .offset:         56
        .size:           2
        .value_kind:     hidden_group_size_z
      - .offset:         58
        .size:           2
        .value_kind:     hidden_remainder_x
      - .offset:         60
        .size:           2
        .value_kind:     hidden_remainder_y
      - .offset:         62
        .size:           2
        .value_kind:     hidden_remainder_z
      - .offset:         80
        .size:           8
        .value_kind:     hidden_global_offset_x
      - .offset:         88
        .size:           8
        .value_kind:     hidden_global_offset_y
      - .offset:         96
        .size:           8
        .value_kind:     hidden_global_offset_z
      - .offset:         104
        .size:           2
        .value_kind:     hidden_grid_dims
    .group_segment_fixed_size: 0
    .kernarg_segment_align: 8
    .kernarg_segment_size: 296
    .language:       OpenCL C
    .language_version:
      - 2
      - 0
    .max_flat_workgroup_size: 1024
    .name:           _ZN2at6native28tensor_kernel_scan_outer_dimIfjSt10multipliesIfEEEvPT_PKS4_jjjS4_T1_
    .private_segment_fixed_size: 0
    .sgpr_count:     36
    .sgpr_spill_count: 0
    .symbol:         _ZN2at6native28tensor_kernel_scan_outer_dimIfjSt10multipliesIfEEEvPT_PKS4_jjjS4_T1_.kd
    .uniform_work_group_size: 1
    .uses_dynamic_stack: false
    .vgpr_count:     9
    .vgpr_spill_count: 0
    .wavefront_size: 64
  - .agpr_count:     0
    .args:
      - .address_space:  global
        .offset:         0
        .size:           8
        .value_kind:     global_buffer
      - .address_space:  global
        .offset:         8
        .size:           8
        .value_kind:     global_buffer
      - .offset:         16
        .size:           4
        .value_kind:     by_value
      - .offset:         20
        .size:           4
        .value_kind:     by_value
      - .offset:         24
        .size:           4
        .value_kind:     by_value
      - .offset:         28
        .size:           4
        .value_kind:     by_value
      - .offset:         32
        .size:           1
        .value_kind:     by_value
      - .offset:         40
        .size:           4
        .value_kind:     hidden_block_count_x
      - .offset:         44
        .size:           4
        .value_kind:     hidden_block_count_y
      - .offset:         48
        .size:           4
        .value_kind:     hidden_block_count_z
      - .offset:         52
        .size:           2
        .value_kind:     hidden_group_size_x
      - .offset:         54
        .size:           2
        .value_kind:     hidden_group_size_y
      - .offset:         56
        .size:           2
        .value_kind:     hidden_group_size_z
      - .offset:         58
        .size:           2
        .value_kind:     hidden_remainder_x
      - .offset:         60
        .size:           2
        .value_kind:     hidden_remainder_y
      - .offset:         62
        .size:           2
        .value_kind:     hidden_remainder_z
      - .offset:         80
        .size:           8
        .value_kind:     hidden_global_offset_x
      - .offset:         88
        .size:           8
        .value_kind:     hidden_global_offset_y
      - .offset:         96
        .size:           8
        .value_kind:     hidden_global_offset_z
      - .offset:         104
        .size:           2
        .value_kind:     hidden_grid_dims
    .group_segment_fixed_size: 0
    .kernarg_segment_align: 8
    .kernarg_segment_size: 296
    .language:       OpenCL C
    .language_version:
      - 2
      - 0
    .max_flat_workgroup_size: 1024
    .name:           _ZN2at6native28tensor_kernel_scan_outer_dimIfmSt10multipliesIfEEEvPT_PKS4_jjjS4_T1_
    .private_segment_fixed_size: 0
    .sgpr_count:     35
    .sgpr_spill_count: 0
    .symbol:         _ZN2at6native28tensor_kernel_scan_outer_dimIfmSt10multipliesIfEEEvPT_PKS4_jjjS4_T1_.kd
    .uniform_work_group_size: 1
    .uses_dynamic_stack: false
    .vgpr_count:     9
    .vgpr_spill_count: 0
    .wavefront_size: 64
  - .agpr_count:     0
    .args:
      - .offset:         0
        .size:           24
        .value_kind:     by_value
      - .offset:         24
        .size:           4
        .value_kind:     by_value
      - .offset:         28
        .size:           4
        .value_kind:     by_value
      - .address_space:  global
        .offset:         32
        .size:           8
        .value_kind:     global_buffer
      - .offset:         40
        .size:           4
        .value_kind:     hidden_block_count_x
      - .offset:         44
        .size:           4
        .value_kind:     hidden_block_count_y
      - .offset:         48
        .size:           4
        .value_kind:     hidden_block_count_z
      - .offset:         52
        .size:           2
        .value_kind:     hidden_group_size_x
      - .offset:         54
        .size:           2
        .value_kind:     hidden_group_size_y
      - .offset:         56
        .size:           2
        .value_kind:     hidden_group_size_z
      - .offset:         58
        .size:           2
        .value_kind:     hidden_remainder_x
      - .offset:         60
        .size:           2
        .value_kind:     hidden_remainder_y
      - .offset:         62
        .size:           2
        .value_kind:     hidden_remainder_z
      - .offset:         80
        .size:           8
        .value_kind:     hidden_global_offset_x
      - .offset:         88
        .size:           8
        .value_kind:     hidden_global_offset_y
      - .offset:         96
        .size:           8
        .value_kind:     hidden_global_offset_z
      - .offset:         104
        .size:           2
        .value_kind:     hidden_grid_dims
    .group_segment_fixed_size: 0
    .kernarg_segment_align: 8
    .kernarg_segment_size: 296
    .language:       OpenCL C
    .language_version:
      - 2
      - 0
    .max_flat_workgroup_size: 256
    .name:           _ZN7rocprim17ROCPRIM_304000_NS6detail31init_lookback_scan_state_kernelINS1_19lookback_scan_stateIN3c107complexIdEELb1ELb0EEEEEvT_jjPNS8_10value_typeE
    .private_segment_fixed_size: 0
    .sgpr_count:     24
    .sgpr_spill_count: 0
    .symbol:         _ZN7rocprim17ROCPRIM_304000_NS6detail31init_lookback_scan_state_kernelINS1_19lookback_scan_stateIN3c107complexIdEELb1ELb0EEEEEvT_jjPNS8_10value_typeE.kd
    .uniform_work_group_size: 1
    .uses_dynamic_stack: false
    .vgpr_count:     6
    .vgpr_spill_count: 0
    .wavefront_size: 64
  - .agpr_count:     0
    .args:
      - .offset:         0
        .size:           24
        .value_kind:     by_value
      - .offset:         24
        .size:           4
        .value_kind:     by_value
      - .offset:         28
        .size:           4
        .value_kind:     by_value
      - .address_space:  global
        .offset:         32
        .size:           8
        .value_kind:     global_buffer
      - .offset:         40
        .size:           4
        .value_kind:     hidden_block_count_x
      - .offset:         44
        .size:           4
        .value_kind:     hidden_block_count_y
      - .offset:         48
        .size:           4
        .value_kind:     hidden_block_count_z
      - .offset:         52
        .size:           2
        .value_kind:     hidden_group_size_x
      - .offset:         54
        .size:           2
        .value_kind:     hidden_group_size_y
      - .offset:         56
        .size:           2
        .value_kind:     hidden_group_size_z
      - .offset:         58
        .size:           2
        .value_kind:     hidden_remainder_x
      - .offset:         60
        .size:           2
        .value_kind:     hidden_remainder_y
      - .offset:         62
        .size:           2
        .value_kind:     hidden_remainder_z
      - .offset:         80
        .size:           8
        .value_kind:     hidden_global_offset_x
      - .offset:         88
        .size:           8
        .value_kind:     hidden_global_offset_y
      - .offset:         96
        .size:           8
        .value_kind:     hidden_global_offset_z
      - .offset:         104
        .size:           2
        .value_kind:     hidden_grid_dims
    .group_segment_fixed_size: 0
    .kernarg_segment_align: 8
    .kernarg_segment_size: 296
    .language:       OpenCL C
    .language_version:
      - 2
      - 0
    .max_flat_workgroup_size: 256
    .name:           _ZN7rocprim17ROCPRIM_304000_NS6detail31init_lookback_scan_state_kernelINS1_19lookback_scan_stateIN3c107complexIdEELb0ELb0EEEEEvT_jjPNS8_10value_typeE
    .private_segment_fixed_size: 0
    .sgpr_count:     22
    .sgpr_spill_count: 0
    .symbol:         _ZN7rocprim17ROCPRIM_304000_NS6detail31init_lookback_scan_state_kernelINS1_19lookback_scan_stateIN3c107complexIdEELb0ELb0EEEEEvT_jjPNS8_10value_typeE.kd
    .uniform_work_group_size: 1
    .uses_dynamic_stack: false
    .vgpr_count:     6
    .vgpr_spill_count: 0
    .wavefront_size: 64
  - .agpr_count:     0
    .args:
      - .address_space:  global
        .offset:         0
        .size:           8
        .value_kind:     global_buffer
      - .address_space:  global
        .offset:         8
        .size:           8
        .value_kind:     global_buffer
      - .offset:         16
        .size:           8
        .value_kind:     by_value
      - .offset:         32
        .size:           16
        .value_kind:     by_value
      - .offset:         48
        .size:           1
        .value_kind:     by_value
      - .offset:         56
        .size:           24
        .value_kind:     by_value
      - .offset:         80
        .size:           4
        .value_kind:     by_value
      - .address_space:  global
        .offset:         88
        .size:           8
        .value_kind:     global_buffer
      - .address_space:  global
        .offset:         96
        .size:           8
        .value_kind:     global_buffer
      - .offset:         104
        .size:           1
        .value_kind:     by_value
      - .offset:         105
        .size:           1
        .value_kind:     by_value
    .group_segment_fixed_size: 0
    .kernarg_segment_align: 16
    .kernarg_segment_size: 108
    .language:       OpenCL C
    .language_version:
      - 2
      - 0
    .max_flat_workgroup_size: 256
    .name:           _ZN7rocprim17ROCPRIM_304000_NS6detail20lookback_scan_kernelILNS1_25lookback_scan_determinismE0ELb0ENS1_19wrapped_scan_configINS0_14default_configEN3c107complexIdEEEEPKS8_PS8_St10multipliesIS8_ES8_S8_NS1_19lookback_scan_stateIS8_Lb1ELb0EEEEEvT2_T3_mT5_T4_T7_jPT6_SN_bb
    .private_segment_fixed_size: 0
    .sgpr_count:     6
    .sgpr_spill_count: 0
    .symbol:         _ZN7rocprim17ROCPRIM_304000_NS6detail20lookback_scan_kernelILNS1_25lookback_scan_determinismE0ELb0ENS1_19wrapped_scan_configINS0_14default_configEN3c107complexIdEEEEPKS8_PS8_St10multipliesIS8_ES8_S8_NS1_19lookback_scan_stateIS8_Lb1ELb0EEEEEvT2_T3_mT5_T4_T7_jPT6_SN_bb.kd
    .uniform_work_group_size: 1
    .uses_dynamic_stack: false
    .vgpr_count:     0
    .vgpr_spill_count: 0
    .wavefront_size: 64
  - .agpr_count:     0
    .args:
      - .address_space:  global
        .offset:         0
        .size:           8
        .value_kind:     global_buffer
      - .address_space:  global
        .offset:         8
        .size:           8
        .value_kind:     global_buffer
      - .offset:         16
        .size:           8
        .value_kind:     by_value
      - .offset:         32
        .size:           16
        .value_kind:     by_value
      - .offset:         48
        .size:           1
        .value_kind:     by_value
      - .offset:         56
        .size:           24
        .value_kind:     by_value
      - .offset:         80
        .size:           4
        .value_kind:     by_value
      - .address_space:  global
        .offset:         88
        .size:           8
        .value_kind:     global_buffer
      - .address_space:  global
        .offset:         96
        .size:           8
        .value_kind:     global_buffer
      - .offset:         104
        .size:           1
        .value_kind:     by_value
      - .offset:         105
        .size:           1
        .value_kind:     by_value
    .group_segment_fixed_size: 57344
    .kernarg_segment_align: 16
    .kernarg_segment_size: 108
    .language:       OpenCL C
    .language_version:
      - 2
      - 0
    .max_flat_workgroup_size: 256
    .name:           _ZN7rocprim17ROCPRIM_304000_NS6detail20lookback_scan_kernelILNS1_25lookback_scan_determinismE0ELb0ENS1_19wrapped_scan_configINS0_14default_configEN3c107complexIdEEEEPKS8_PS8_St10multipliesIS8_ES8_S8_NS1_19lookback_scan_stateIS8_Lb0ELb0EEEEEvT2_T3_mT5_T4_T7_jPT6_SN_bb
    .private_segment_fixed_size: 0
    .sgpr_count:     34
    .sgpr_spill_count: 0
    .symbol:         _ZN7rocprim17ROCPRIM_304000_NS6detail20lookback_scan_kernelILNS1_25lookback_scan_determinismE0ELb0ENS1_19wrapped_scan_configINS0_14default_configEN3c107complexIdEEEEPKS8_PS8_St10multipliesIS8_ES8_S8_NS1_19lookback_scan_stateIS8_Lb0ELb0EEEEEvT2_T3_mT5_T4_T7_jPT6_SN_bb.kd
    .uniform_work_group_size: 1
    .uses_dynamic_stack: false
    .vgpr_count:     130
    .vgpr_spill_count: 0
    .wavefront_size: 64
  - .agpr_count:     0
    .args:
      - .address_space:  global
        .offset:         0
        .size:           8
        .value_kind:     global_buffer
      - .offset:         8
        .size:           8
        .value_kind:     by_value
      - .address_space:  global
        .offset:         16
        .size:           8
        .value_kind:     global_buffer
      - .offset:         24
        .size:           1
        .value_kind:     by_value
      - .offset:         32
        .size:           4
        .value_kind:     hidden_block_count_x
      - .offset:         36
        .size:           4
        .value_kind:     hidden_block_count_y
      - .offset:         40
        .size:           4
        .value_kind:     hidden_block_count_z
      - .offset:         44
        .size:           2
        .value_kind:     hidden_group_size_x
      - .offset:         46
        .size:           2
        .value_kind:     hidden_group_size_y
      - .offset:         48
        .size:           2
        .value_kind:     hidden_group_size_z
      - .offset:         50
        .size:           2
        .value_kind:     hidden_remainder_x
      - .offset:         52
        .size:           2
        .value_kind:     hidden_remainder_y
      - .offset:         54
        .size:           2
        .value_kind:     hidden_remainder_z
      - .offset:         72
        .size:           8
        .value_kind:     hidden_global_offset_x
      - .offset:         80
        .size:           8
        .value_kind:     hidden_global_offset_y
      - .offset:         88
        .size:           8
        .value_kind:     hidden_global_offset_z
      - .offset:         96
        .size:           2
        .value_kind:     hidden_grid_dims
    .group_segment_fixed_size: 0
    .kernarg_segment_align: 8
    .kernarg_segment_size: 288
    .language:       OpenCL C
    .language_version:
      - 2
      - 0
    .max_flat_workgroup_size: 256
    .name:           _ZN7rocprim17ROCPRIM_304000_NS6detail16transform_kernelINS1_24wrapped_transform_configINS0_14default_configEN3c107complexIdEEEES7_PS7_S9_NS0_8identityIS7_EEEEvT1_mT2_T3_
    .private_segment_fixed_size: 0
    .sgpr_count:     16
    .sgpr_spill_count: 0
    .symbol:         _ZN7rocprim17ROCPRIM_304000_NS6detail16transform_kernelINS1_24wrapped_transform_configINS0_14default_configEN3c107complexIdEEEES7_PS7_S9_NS0_8identityIS7_EEEEvT1_mT2_T3_.kd
    .uniform_work_group_size: 1
    .uses_dynamic_stack: false
    .vgpr_count:     5
    .vgpr_spill_count: 0
    .wavefront_size: 64
  - .agpr_count:     0
    .args:
      - .address_space:  global
        .offset:         0
        .size:           8
        .value_kind:     global_buffer
      - .offset:         8
        .size:           8
        .value_kind:     by_value
      - .offset:         16
        .size:           16
        .value_kind:     by_value
      - .address_space:  global
        .offset:         32
        .size:           8
        .value_kind:     global_buffer
      - .offset:         40
        .size:           1
        .value_kind:     by_value
    .group_segment_fixed_size: 57344
    .kernarg_segment_align: 16
    .kernarg_segment_size: 44
    .language:       OpenCL C
    .language_version:
      - 2
      - 0
    .max_flat_workgroup_size: 256
    .name:           _ZN7rocprim17ROCPRIM_304000_NS6detail18single_scan_kernelILb0ENS1_19wrapped_scan_configINS0_14default_configEN3c107complexIdEEEEPKS7_PS7_St10multipliesIS7_ES7_S7_EEvT1_mT4_T2_T3_
    .private_segment_fixed_size: 0
    .sgpr_count:     46
    .sgpr_spill_count: 0
    .symbol:         _ZN7rocprim17ROCPRIM_304000_NS6detail18single_scan_kernelILb0ENS1_19wrapped_scan_configINS0_14default_configEN3c107complexIdEEEEPKS7_PS7_St10multipliesIS7_ES7_S7_EEvT1_mT4_T2_T3_.kd
    .uniform_work_group_size: 1
    .uses_dynamic_stack: false
    .vgpr_count:     128
    .vgpr_spill_count: 0
    .wavefront_size: 64
  - .agpr_count:     0
    .args:
      - .address_space:  global
        .offset:         0
        .size:           8
        .value_kind:     global_buffer
      - .address_space:  global
        .offset:         8
        .size:           8
        .value_kind:     global_buffer
      - .offset:         16
        .size:           4
        .value_kind:     by_value
      - .offset:         20
        .size:           4
        .value_kind:     by_value
      - .offset:         24
        .size:           4
        .value_kind:     by_value
      - .offset:         32
        .size:           16
        .value_kind:     by_value
      - .offset:         48
        .size:           1
        .value_kind:     by_value
      - .offset:         56
        .size:           4
        .value_kind:     hidden_block_count_x
      - .offset:         60
        .size:           4
        .value_kind:     hidden_block_count_y
      - .offset:         64
        .size:           4
        .value_kind:     hidden_block_count_z
      - .offset:         68
        .size:           2
        .value_kind:     hidden_group_size_x
      - .offset:         70
        .size:           2
        .value_kind:     hidden_group_size_y
      - .offset:         72
        .size:           2
        .value_kind:     hidden_group_size_z
      - .offset:         74
        .size:           2
        .value_kind:     hidden_remainder_x
      - .offset:         76
        .size:           2
        .value_kind:     hidden_remainder_y
      - .offset:         78
        .size:           2
        .value_kind:     hidden_remainder_z
      - .offset:         96
        .size:           8
        .value_kind:     hidden_global_offset_x
      - .offset:         104
        .size:           8
        .value_kind:     hidden_global_offset_y
      - .offset:         112
        .size:           8
        .value_kind:     hidden_global_offset_z
      - .offset:         120
        .size:           2
        .value_kind:     hidden_grid_dims
      - .offset:         176
        .size:           4
        .value_kind:     hidden_dynamic_lds_size
    .group_segment_fixed_size: 0
    .kernarg_segment_align: 16
    .kernarg_segment_size: 312
    .language:       OpenCL C
    .language_version:
      - 2
      - 0
    .max_flat_workgroup_size: 1024
    .name:           _ZN2at6native32tensor_kernel_scan_innermost_dimIN3c107complexIdEESt10multipliesIS4_EEEvPT_PKS7_jjjS7_T0_
    .private_segment_fixed_size: 0
    .sgpr_count:     43
    .sgpr_spill_count: 0
    .symbol:         _ZN2at6native32tensor_kernel_scan_innermost_dimIN3c107complexIdEESt10multipliesIS4_EEEvPT_PKS7_jjjS7_T0_.kd
    .uniform_work_group_size: 1
    .uses_dynamic_stack: false
    .vgpr_count:     32
    .vgpr_spill_count: 0
    .wavefront_size: 64
  - .agpr_count:     0
    .args:
      - .address_space:  global
        .offset:         0
        .size:           8
        .value_kind:     global_buffer
      - .address_space:  global
        .offset:         8
        .size:           8
        .value_kind:     global_buffer
      - .offset:         16
        .size:           4
        .value_kind:     by_value
      - .offset:         20
        .size:           4
        .value_kind:     by_value
      - .offset:         24
        .size:           4
        .value_kind:     by_value
      - .offset:         32
        .size:           16
        .value_kind:     by_value
      - .offset:         48
        .size:           1
        .value_kind:     by_value
      - .offset:         56
        .size:           4
        .value_kind:     hidden_block_count_x
      - .offset:         60
        .size:           4
        .value_kind:     hidden_block_count_y
      - .offset:         64
        .size:           4
        .value_kind:     hidden_block_count_z
      - .offset:         68
        .size:           2
        .value_kind:     hidden_group_size_x
      - .offset:         70
        .size:           2
        .value_kind:     hidden_group_size_y
      - .offset:         72
        .size:           2
        .value_kind:     hidden_group_size_z
      - .offset:         74
        .size:           2
        .value_kind:     hidden_remainder_x
      - .offset:         76
        .size:           2
        .value_kind:     hidden_remainder_y
      - .offset:         78
        .size:           2
        .value_kind:     hidden_remainder_z
      - .offset:         96
        .size:           8
        .value_kind:     hidden_global_offset_x
      - .offset:         104
        .size:           8
        .value_kind:     hidden_global_offset_y
      - .offset:         112
        .size:           8
        .value_kind:     hidden_global_offset_z
      - .offset:         120
        .size:           2
        .value_kind:     hidden_grid_dims
    .group_segment_fixed_size: 0
    .kernarg_segment_align: 16
    .kernarg_segment_size: 312
    .language:       OpenCL C
    .language_version:
      - 2
      - 0
    .max_flat_workgroup_size: 1024
    .name:           _ZN2at6native28tensor_kernel_scan_outer_dimIN3c107complexIdEEjSt10multipliesIS4_EEEvPT_PKS7_jjjS7_T1_
    .private_segment_fixed_size: 0
    .sgpr_count:     40
    .sgpr_spill_count: 0
    .symbol:         _ZN2at6native28tensor_kernel_scan_outer_dimIN3c107complexIdEEjSt10multipliesIS4_EEEvPT_PKS7_jjjS7_T1_.kd
    .uniform_work_group_size: 1
    .uses_dynamic_stack: false
    .vgpr_count:     20
    .vgpr_spill_count: 0
    .wavefront_size: 64
  - .agpr_count:     0
    .args:
      - .address_space:  global
        .offset:         0
        .size:           8
        .value_kind:     global_buffer
      - .address_space:  global
        .offset:         8
        .size:           8
        .value_kind:     global_buffer
      - .offset:         16
        .size:           4
        .value_kind:     by_value
      - .offset:         20
        .size:           4
        .value_kind:     by_value
      - .offset:         24
        .size:           4
        .value_kind:     by_value
      - .offset:         32
        .size:           16
        .value_kind:     by_value
      - .offset:         48
        .size:           1
        .value_kind:     by_value
      - .offset:         56
        .size:           4
        .value_kind:     hidden_block_count_x
      - .offset:         60
        .size:           4
        .value_kind:     hidden_block_count_y
      - .offset:         64
        .size:           4
        .value_kind:     hidden_block_count_z
      - .offset:         68
        .size:           2
        .value_kind:     hidden_group_size_x
      - .offset:         70
        .size:           2
        .value_kind:     hidden_group_size_y
      - .offset:         72
        .size:           2
        .value_kind:     hidden_group_size_z
      - .offset:         74
        .size:           2
        .value_kind:     hidden_remainder_x
      - .offset:         76
        .size:           2
        .value_kind:     hidden_remainder_y
      - .offset:         78
        .size:           2
        .value_kind:     hidden_remainder_z
      - .offset:         96
        .size:           8
        .value_kind:     hidden_global_offset_x
      - .offset:         104
        .size:           8
        .value_kind:     hidden_global_offset_y
      - .offset:         112
        .size:           8
        .value_kind:     hidden_global_offset_z
      - .offset:         120
        .size:           2
        .value_kind:     hidden_grid_dims
    .group_segment_fixed_size: 0
    .kernarg_segment_align: 16
    .kernarg_segment_size: 312
    .language:       OpenCL C
    .language_version:
      - 2
      - 0
    .max_flat_workgroup_size: 1024
    .name:           _ZN2at6native28tensor_kernel_scan_outer_dimIN3c107complexIdEEmSt10multipliesIS4_EEEvPT_PKS7_jjjS7_T1_
    .private_segment_fixed_size: 0
    .sgpr_count:     38
    .sgpr_spill_count: 0
    .symbol:         _ZN2at6native28tensor_kernel_scan_outer_dimIN3c107complexIdEEmSt10multipliesIS4_EEEvPT_PKS7_jjjS7_T1_.kd
    .uniform_work_group_size: 1
    .uses_dynamic_stack: false
    .vgpr_count:     20
    .vgpr_spill_count: 0
    .wavefront_size: 64
  - .agpr_count:     0
    .args:
      - .address_space:  global
        .offset:         0
        .size:           8
        .value_kind:     global_buffer
      - .offset:         8
        .size:           4
        .value_kind:     by_value
      - .offset:         12
        .size:           4
        .value_kind:     by_value
      - .address_space:  global
        .offset:         16
        .size:           8
        .value_kind:     global_buffer
      - .offset:         24
        .size:           4
        .value_kind:     hidden_block_count_x
      - .offset:         28
        .size:           4
        .value_kind:     hidden_block_count_y
      - .offset:         32
        .size:           4
        .value_kind:     hidden_block_count_z
      - .offset:         36
        .size:           2
        .value_kind:     hidden_group_size_x
      - .offset:         38
        .size:           2
        .value_kind:     hidden_group_size_y
      - .offset:         40
        .size:           2
        .value_kind:     hidden_group_size_z
      - .offset:         42
        .size:           2
        .value_kind:     hidden_remainder_x
      - .offset:         44
        .size:           2
        .value_kind:     hidden_remainder_y
      - .offset:         46
        .size:           2
        .value_kind:     hidden_remainder_z
      - .offset:         64
        .size:           8
        .value_kind:     hidden_global_offset_x
      - .offset:         72
        .size:           8
        .value_kind:     hidden_global_offset_y
      - .offset:         80
        .size:           8
        .value_kind:     hidden_global_offset_z
      - .offset:         88
        .size:           2
        .value_kind:     hidden_grid_dims
    .group_segment_fixed_size: 0
    .kernarg_segment_align: 8
    .kernarg_segment_size: 280
    .language:       OpenCL C
    .language_version:
      - 2
      - 0
    .max_flat_workgroup_size: 256
    .name:           _ZN7rocprim17ROCPRIM_304000_NS6detail31init_lookback_scan_state_kernelINS1_19lookback_scan_stateIN3c107complexIfEELb1ELb1EEEEEvT_jjPNS8_10value_typeE
    .private_segment_fixed_size: 0
    .sgpr_count:     20
    .sgpr_spill_count: 0
    .symbol:         _ZN7rocprim17ROCPRIM_304000_NS6detail31init_lookback_scan_state_kernelINS1_19lookback_scan_stateIN3c107complexIfEELb1ELb1EEEEEvT_jjPNS8_10value_typeE.kd
    .uniform_work_group_size: 1
    .uses_dynamic_stack: false
    .vgpr_count:     10
    .vgpr_spill_count: 0
    .wavefront_size: 64
  - .agpr_count:     0
    .args:
      - .address_space:  global
        .offset:         0
        .size:           8
        .value_kind:     global_buffer
      - .offset:         8
        .size:           4
        .value_kind:     by_value
      - .offset:         12
        .size:           4
        .value_kind:     by_value
      - .address_space:  global
        .offset:         16
        .size:           8
        .value_kind:     global_buffer
      - .offset:         24
        .size:           4
        .value_kind:     hidden_block_count_x
      - .offset:         28
        .size:           4
        .value_kind:     hidden_block_count_y
      - .offset:         32
        .size:           4
        .value_kind:     hidden_block_count_z
      - .offset:         36
        .size:           2
        .value_kind:     hidden_group_size_x
      - .offset:         38
        .size:           2
        .value_kind:     hidden_group_size_y
      - .offset:         40
        .size:           2
        .value_kind:     hidden_group_size_z
      - .offset:         42
        .size:           2
        .value_kind:     hidden_remainder_x
      - .offset:         44
        .size:           2
        .value_kind:     hidden_remainder_y
      - .offset:         46
        .size:           2
        .value_kind:     hidden_remainder_z
      - .offset:         64
        .size:           8
        .value_kind:     hidden_global_offset_x
      - .offset:         72
        .size:           8
        .value_kind:     hidden_global_offset_y
      - .offset:         80
        .size:           8
        .value_kind:     hidden_global_offset_z
      - .offset:         88
        .size:           2
        .value_kind:     hidden_grid_dims
    .group_segment_fixed_size: 0
    .kernarg_segment_align: 8
    .kernarg_segment_size: 280
    .language:       OpenCL C
    .language_version:
      - 2
      - 0
    .max_flat_workgroup_size: 256
    .name:           _ZN7rocprim17ROCPRIM_304000_NS6detail31init_lookback_scan_state_kernelINS1_19lookback_scan_stateIN3c107complexIfEELb0ELb1EEEEEvT_jjPNS8_10value_typeE
    .private_segment_fixed_size: 0
    .sgpr_count:     20
    .sgpr_spill_count: 0
    .symbol:         _ZN7rocprim17ROCPRIM_304000_NS6detail31init_lookback_scan_state_kernelINS1_19lookback_scan_stateIN3c107complexIfEELb0ELb1EEEEEvT_jjPNS8_10value_typeE.kd
    .uniform_work_group_size: 1
    .uses_dynamic_stack: false
    .vgpr_count:     10
    .vgpr_spill_count: 0
    .wavefront_size: 64
  - .agpr_count:     0
    .args:
      - .address_space:  global
        .offset:         0
        .size:           8
        .value_kind:     global_buffer
      - .address_space:  global
        .offset:         8
        .size:           8
        .value_kind:     global_buffer
      - .offset:         16
        .size:           8
        .value_kind:     by_value
      - .offset:         24
        .size:           8
        .value_kind:     by_value
      - .offset:         32
        .size:           1
        .value_kind:     by_value
      - .address_space:  global
        .offset:         40
        .size:           8
        .value_kind:     global_buffer
      - .offset:         48
        .size:           4
        .value_kind:     by_value
      - .address_space:  global
        .offset:         56
        .size:           8
        .value_kind:     global_buffer
      - .address_space:  global
        .offset:         64
        .size:           8
        .value_kind:     global_buffer
      - .offset:         72
        .size:           1
        .value_kind:     by_value
      - .offset:         73
        .size:           1
        .value_kind:     by_value
    .group_segment_fixed_size: 0
    .kernarg_segment_align: 8
    .kernarg_segment_size: 76
    .language:       OpenCL C
    .language_version:
      - 2
      - 0
    .max_flat_workgroup_size: 256
    .name:           _ZN7rocprim17ROCPRIM_304000_NS6detail20lookback_scan_kernelILNS1_25lookback_scan_determinismE0ELb0ENS1_19wrapped_scan_configINS0_14default_configEN3c107complexIfEEEEPKS8_PS8_St10multipliesIS8_ES8_S8_NS1_19lookback_scan_stateIS8_Lb1ELb1EEEEEvT2_T3_mT5_T4_T7_jPT6_SN_bb
    .private_segment_fixed_size: 0
    .sgpr_count:     6
    .sgpr_spill_count: 0
    .symbol:         _ZN7rocprim17ROCPRIM_304000_NS6detail20lookback_scan_kernelILNS1_25lookback_scan_determinismE0ELb0ENS1_19wrapped_scan_configINS0_14default_configEN3c107complexIfEEEEPKS8_PS8_St10multipliesIS8_ES8_S8_NS1_19lookback_scan_stateIS8_Lb1ELb1EEEEEvT2_T3_mT5_T4_T7_jPT6_SN_bb.kd
    .uniform_work_group_size: 1
    .uses_dynamic_stack: false
    .vgpr_count:     0
    .vgpr_spill_count: 0
    .wavefront_size: 64
  - .agpr_count:     0
    .args:
      - .address_space:  global
        .offset:         0
        .size:           8
        .value_kind:     global_buffer
      - .address_space:  global
        .offset:         8
        .size:           8
        .value_kind:     global_buffer
      - .offset:         16
        .size:           8
        .value_kind:     by_value
      - .offset:         24
        .size:           8
        .value_kind:     by_value
      - .offset:         32
        .size:           1
        .value_kind:     by_value
      - .address_space:  global
        .offset:         40
        .size:           8
        .value_kind:     global_buffer
      - .offset:         48
        .size:           4
        .value_kind:     by_value
      - .address_space:  global
        .offset:         56
        .size:           8
        .value_kind:     global_buffer
      - .address_space:  global
        .offset:         64
        .size:           8
        .value_kind:     global_buffer
      - .offset:         72
        .size:           1
        .value_kind:     by_value
      - .offset:         73
        .size:           1
        .value_kind:     by_value
    .group_segment_fixed_size: 30720
    .kernarg_segment_align: 8
    .kernarg_segment_size: 76
    .language:       OpenCL C
    .language_version:
      - 2
      - 0
    .max_flat_workgroup_size: 256
    .name:           _ZN7rocprim17ROCPRIM_304000_NS6detail20lookback_scan_kernelILNS1_25lookback_scan_determinismE0ELb0ENS1_19wrapped_scan_configINS0_14default_configEN3c107complexIfEEEEPKS8_PS8_St10multipliesIS8_ES8_S8_NS1_19lookback_scan_stateIS8_Lb0ELb1EEEEEvT2_T3_mT5_T4_T7_jPT6_SN_bb
    .private_segment_fixed_size: 0
    .sgpr_count:     36
    .sgpr_spill_count: 0
    .symbol:         _ZN7rocprim17ROCPRIM_304000_NS6detail20lookback_scan_kernelILNS1_25lookback_scan_determinismE0ELb0ENS1_19wrapped_scan_configINS0_14default_configEN3c107complexIfEEEEPKS8_PS8_St10multipliesIS8_ES8_S8_NS1_19lookback_scan_stateIS8_Lb0ELb1EEEEEvT2_T3_mT5_T4_T7_jPT6_SN_bb.kd
    .uniform_work_group_size: 1
    .uses_dynamic_stack: false
    .vgpr_count:     126
    .vgpr_spill_count: 0
    .wavefront_size: 64
  - .agpr_count:     0
    .args:
      - .address_space:  global
        .offset:         0
        .size:           8
        .value_kind:     global_buffer
      - .offset:         8
        .size:           8
        .value_kind:     by_value
      - .address_space:  global
        .offset:         16
        .size:           8
        .value_kind:     global_buffer
      - .offset:         24
        .size:           1
        .value_kind:     by_value
      - .offset:         32
        .size:           4
        .value_kind:     hidden_block_count_x
      - .offset:         36
        .size:           4
        .value_kind:     hidden_block_count_y
      - .offset:         40
        .size:           4
        .value_kind:     hidden_block_count_z
      - .offset:         44
        .size:           2
        .value_kind:     hidden_group_size_x
      - .offset:         46
        .size:           2
        .value_kind:     hidden_group_size_y
      - .offset:         48
        .size:           2
        .value_kind:     hidden_group_size_z
      - .offset:         50
        .size:           2
        .value_kind:     hidden_remainder_x
      - .offset:         52
        .size:           2
        .value_kind:     hidden_remainder_y
      - .offset:         54
        .size:           2
        .value_kind:     hidden_remainder_z
      - .offset:         72
        .size:           8
        .value_kind:     hidden_global_offset_x
      - .offset:         80
        .size:           8
        .value_kind:     hidden_global_offset_y
      - .offset:         88
        .size:           8
        .value_kind:     hidden_global_offset_z
      - .offset:         96
        .size:           2
        .value_kind:     hidden_grid_dims
    .group_segment_fixed_size: 0
    .kernarg_segment_align: 8
    .kernarg_segment_size: 288
    .language:       OpenCL C
    .language_version:
      - 2
      - 0
    .max_flat_workgroup_size: 256
    .name:           _ZN7rocprim17ROCPRIM_304000_NS6detail16transform_kernelINS1_24wrapped_transform_configINS0_14default_configEN3c107complexIfEEEES7_PS7_S9_NS0_8identityIS7_EEEEvT1_mT2_T3_
    .private_segment_fixed_size: 0
    .sgpr_count:     18
    .sgpr_spill_count: 0
    .symbol:         _ZN7rocprim17ROCPRIM_304000_NS6detail16transform_kernelINS1_24wrapped_transform_configINS0_14default_configEN3c107complexIfEEEES7_PS7_S9_NS0_8identityIS7_EEEEvT1_mT2_T3_.kd
    .uniform_work_group_size: 1
    .uses_dynamic_stack: false
    .vgpr_count:     10
    .vgpr_spill_count: 0
    .wavefront_size: 64
  - .agpr_count:     0
    .args:
      - .address_space:  global
        .offset:         0
        .size:           8
        .value_kind:     global_buffer
      - .offset:         8
        .size:           8
        .value_kind:     by_value
      - .offset:         16
        .size:           8
        .value_kind:     by_value
      - .address_space:  global
        .offset:         24
        .size:           8
        .value_kind:     global_buffer
      - .offset:         32
        .size:           1
        .value_kind:     by_value
    .group_segment_fixed_size: 30720
    .kernarg_segment_align: 8
    .kernarg_segment_size: 36
    .language:       OpenCL C
    .language_version:
      - 2
      - 0
    .max_flat_workgroup_size: 256
    .name:           _ZN7rocprim17ROCPRIM_304000_NS6detail18single_scan_kernelILb0ENS1_19wrapped_scan_configINS0_14default_configEN3c107complexIfEEEEPKS7_PS7_St10multipliesIS7_ES7_S7_EEvT1_mT4_T2_T3_
    .private_segment_fixed_size: 0
    .sgpr_count:     44
    .sgpr_spill_count: 0
    .symbol:         _ZN7rocprim17ROCPRIM_304000_NS6detail18single_scan_kernelILb0ENS1_19wrapped_scan_configINS0_14default_configEN3c107complexIfEEEEPKS7_PS7_St10multipliesIS7_ES7_S7_EEvT1_mT4_T2_T3_.kd
    .uniform_work_group_size: 1
    .uses_dynamic_stack: false
    .vgpr_count:     84
    .vgpr_spill_count: 0
    .wavefront_size: 64
  - .agpr_count:     0
    .args:
      - .address_space:  global
        .offset:         0
        .size:           8
        .value_kind:     global_buffer
      - .address_space:  global
        .offset:         8
        .size:           8
        .value_kind:     global_buffer
      - .offset:         16
        .size:           4
        .value_kind:     by_value
      - .offset:         20
        .size:           4
        .value_kind:     by_value
      - .offset:         24
        .size:           4
        .value_kind:     by_value
      - .offset:         32
        .size:           8
        .value_kind:     by_value
      - .offset:         40
        .size:           1
        .value_kind:     by_value
      - .offset:         48
        .size:           4
        .value_kind:     hidden_block_count_x
      - .offset:         52
        .size:           4
        .value_kind:     hidden_block_count_y
      - .offset:         56
        .size:           4
        .value_kind:     hidden_block_count_z
      - .offset:         60
        .size:           2
        .value_kind:     hidden_group_size_x
      - .offset:         62
        .size:           2
        .value_kind:     hidden_group_size_y
      - .offset:         64
        .size:           2
        .value_kind:     hidden_group_size_z
      - .offset:         66
        .size:           2
        .value_kind:     hidden_remainder_x
      - .offset:         68
        .size:           2
        .value_kind:     hidden_remainder_y
      - .offset:         70
        .size:           2
        .value_kind:     hidden_remainder_z
      - .offset:         88
        .size:           8
        .value_kind:     hidden_global_offset_x
      - .offset:         96
        .size:           8
        .value_kind:     hidden_global_offset_y
      - .offset:         104
        .size:           8
        .value_kind:     hidden_global_offset_z
      - .offset:         112
        .size:           2
        .value_kind:     hidden_grid_dims
      - .offset:         168
        .size:           4
        .value_kind:     hidden_dynamic_lds_size
    .group_segment_fixed_size: 0
    .kernarg_segment_align: 8
    .kernarg_segment_size: 304
    .language:       OpenCL C
    .language_version:
      - 2
      - 0
    .max_flat_workgroup_size: 1024
    .name:           _ZN2at6native32tensor_kernel_scan_innermost_dimIN3c107complexIfEESt10multipliesIS4_EEEvPT_PKS7_jjjS7_T0_
    .private_segment_fixed_size: 0
    .sgpr_count:     41
    .sgpr_spill_count: 0
    .symbol:         _ZN2at6native32tensor_kernel_scan_innermost_dimIN3c107complexIfEESt10multipliesIS4_EEEvPT_PKS7_jjjS7_T0_.kd
    .uniform_work_group_size: 1
    .uses_dynamic_stack: false
    .vgpr_count:     24
    .vgpr_spill_count: 0
    .wavefront_size: 64
  - .agpr_count:     0
    .args:
      - .address_space:  global
        .offset:         0
        .size:           8
        .value_kind:     global_buffer
      - .address_space:  global
        .offset:         8
        .size:           8
        .value_kind:     global_buffer
      - .offset:         16
        .size:           4
        .value_kind:     by_value
      - .offset:         20
        .size:           4
        .value_kind:     by_value
      - .offset:         24
        .size:           4
        .value_kind:     by_value
      - .offset:         32
        .size:           8
        .value_kind:     by_value
      - .offset:         40
        .size:           1
        .value_kind:     by_value
      - .offset:         48
        .size:           4
        .value_kind:     hidden_block_count_x
      - .offset:         52
        .size:           4
        .value_kind:     hidden_block_count_y
      - .offset:         56
        .size:           4
        .value_kind:     hidden_block_count_z
      - .offset:         60
        .size:           2
        .value_kind:     hidden_group_size_x
      - .offset:         62
        .size:           2
        .value_kind:     hidden_group_size_y
      - .offset:         64
        .size:           2
        .value_kind:     hidden_group_size_z
      - .offset:         66
        .size:           2
        .value_kind:     hidden_remainder_x
      - .offset:         68
        .size:           2
        .value_kind:     hidden_remainder_y
      - .offset:         70
        .size:           2
        .value_kind:     hidden_remainder_z
      - .offset:         88
        .size:           8
        .value_kind:     hidden_global_offset_x
      - .offset:         96
        .size:           8
        .value_kind:     hidden_global_offset_y
      - .offset:         104
        .size:           8
        .value_kind:     hidden_global_offset_z
      - .offset:         112
        .size:           2
        .value_kind:     hidden_grid_dims
    .group_segment_fixed_size: 0
    .kernarg_segment_align: 8
    .kernarg_segment_size: 304
    .language:       OpenCL C
    .language_version:
      - 2
      - 0
    .max_flat_workgroup_size: 1024
    .name:           _ZN2at6native28tensor_kernel_scan_outer_dimIN3c107complexIfEEjSt10multipliesIS4_EEEvPT_PKS7_jjjS7_T1_
    .private_segment_fixed_size: 0
    .sgpr_count:     37
    .sgpr_spill_count: 0
    .symbol:         _ZN2at6native28tensor_kernel_scan_outer_dimIN3c107complexIfEEjSt10multipliesIS4_EEEvPT_PKS7_jjjS7_T1_.kd
    .uniform_work_group_size: 1
    .uses_dynamic_stack: false
    .vgpr_count:     13
    .vgpr_spill_count: 0
    .wavefront_size: 64
  - .agpr_count:     0
    .args:
      - .address_space:  global
        .offset:         0
        .size:           8
        .value_kind:     global_buffer
      - .address_space:  global
        .offset:         8
        .size:           8
        .value_kind:     global_buffer
      - .offset:         16
        .size:           4
        .value_kind:     by_value
      - .offset:         20
        .size:           4
        .value_kind:     by_value
      - .offset:         24
        .size:           4
        .value_kind:     by_value
      - .offset:         32
        .size:           8
        .value_kind:     by_value
      - .offset:         40
        .size:           1
        .value_kind:     by_value
      - .offset:         48
        .size:           4
        .value_kind:     hidden_block_count_x
      - .offset:         52
        .size:           4
        .value_kind:     hidden_block_count_y
      - .offset:         56
        .size:           4
        .value_kind:     hidden_block_count_z
      - .offset:         60
        .size:           2
        .value_kind:     hidden_group_size_x
      - .offset:         62
        .size:           2
        .value_kind:     hidden_group_size_y
      - .offset:         64
        .size:           2
        .value_kind:     hidden_group_size_z
      - .offset:         66
        .size:           2
        .value_kind:     hidden_remainder_x
      - .offset:         68
        .size:           2
        .value_kind:     hidden_remainder_y
      - .offset:         70
        .size:           2
        .value_kind:     hidden_remainder_z
      - .offset:         88
        .size:           8
        .value_kind:     hidden_global_offset_x
      - .offset:         96
        .size:           8
        .value_kind:     hidden_global_offset_y
      - .offset:         104
        .size:           8
        .value_kind:     hidden_global_offset_z
      - .offset:         112
        .size:           2
        .value_kind:     hidden_grid_dims
    .group_segment_fixed_size: 0
    .kernarg_segment_align: 8
    .kernarg_segment_size: 304
    .language:       OpenCL C
    .language_version:
      - 2
      - 0
    .max_flat_workgroup_size: 1024
    .name:           _ZN2at6native28tensor_kernel_scan_outer_dimIN3c107complexIfEEmSt10multipliesIS4_EEEvPT_PKS7_jjjS7_T1_
    .private_segment_fixed_size: 0
    .sgpr_count:     36
    .sgpr_spill_count: 0
    .symbol:         _ZN2at6native28tensor_kernel_scan_outer_dimIN3c107complexIfEEmSt10multipliesIS4_EEEvPT_PKS7_jjjS7_T1_.kd
    .uniform_work_group_size: 1
    .uses_dynamic_stack: false
    .vgpr_count:     13
    .vgpr_spill_count: 0
    .wavefront_size: 64
  - .agpr_count:     0
    .args:
      - .address_space:  global
        .offset:         0
        .size:           8
        .value_kind:     global_buffer
      - .offset:         8
        .size:           4
        .value_kind:     by_value
      - .offset:         12
        .size:           4
        .value_kind:     by_value
      - .address_space:  global
        .offset:         16
        .size:           8
        .value_kind:     global_buffer
      - .offset:         24
        .size:           4
        .value_kind:     hidden_block_count_x
      - .offset:         28
        .size:           4
        .value_kind:     hidden_block_count_y
      - .offset:         32
        .size:           4
        .value_kind:     hidden_block_count_z
      - .offset:         36
        .size:           2
        .value_kind:     hidden_group_size_x
      - .offset:         38
        .size:           2
        .value_kind:     hidden_group_size_y
      - .offset:         40
        .size:           2
        .value_kind:     hidden_group_size_z
      - .offset:         42
        .size:           2
        .value_kind:     hidden_remainder_x
      - .offset:         44
        .size:           2
        .value_kind:     hidden_remainder_y
      - .offset:         46
        .size:           2
        .value_kind:     hidden_remainder_z
      - .offset:         64
        .size:           8
        .value_kind:     hidden_global_offset_x
      - .offset:         72
        .size:           8
        .value_kind:     hidden_global_offset_y
      - .offset:         80
        .size:           8
        .value_kind:     hidden_global_offset_z
      - .offset:         88
        .size:           2
        .value_kind:     hidden_grid_dims
    .group_segment_fixed_size: 0
    .kernarg_segment_align: 8
    .kernarg_segment_size: 280
    .language:       OpenCL C
    .language_version:
      - 2
      - 0
    .max_flat_workgroup_size: 256
    .name:           _ZN7rocprim17ROCPRIM_304000_NS6detail31init_lookback_scan_state_kernelINS1_19lookback_scan_stateIN3c104HalfELb1ELb1EEEEEvT_jjPNS7_10value_typeE
    .private_segment_fixed_size: 0
    .sgpr_count:     18
    .sgpr_spill_count: 0
    .symbol:         _ZN7rocprim17ROCPRIM_304000_NS6detail31init_lookback_scan_state_kernelINS1_19lookback_scan_stateIN3c104HalfELb1ELb1EEEEEvT_jjPNS7_10value_typeE.kd
    .uniform_work_group_size: 1
    .uses_dynamic_stack: false
    .vgpr_count:     6
    .vgpr_spill_count: 0
    .wavefront_size: 64
  - .agpr_count:     0
    .args:
      - .address_space:  global
        .offset:         0
        .size:           8
        .value_kind:     global_buffer
      - .offset:         8
        .size:           4
        .value_kind:     by_value
      - .offset:         12
        .size:           4
        .value_kind:     by_value
      - .address_space:  global
        .offset:         16
        .size:           8
        .value_kind:     global_buffer
      - .offset:         24
        .size:           4
        .value_kind:     hidden_block_count_x
      - .offset:         28
        .size:           4
        .value_kind:     hidden_block_count_y
      - .offset:         32
        .size:           4
        .value_kind:     hidden_block_count_z
      - .offset:         36
        .size:           2
        .value_kind:     hidden_group_size_x
      - .offset:         38
        .size:           2
        .value_kind:     hidden_group_size_y
      - .offset:         40
        .size:           2
        .value_kind:     hidden_group_size_z
      - .offset:         42
        .size:           2
        .value_kind:     hidden_remainder_x
      - .offset:         44
        .size:           2
        .value_kind:     hidden_remainder_y
      - .offset:         46
        .size:           2
        .value_kind:     hidden_remainder_z
      - .offset:         64
        .size:           8
        .value_kind:     hidden_global_offset_x
      - .offset:         72
        .size:           8
        .value_kind:     hidden_global_offset_y
      - .offset:         80
        .size:           8
        .value_kind:     hidden_global_offset_z
      - .offset:         88
        .size:           2
        .value_kind:     hidden_grid_dims
    .group_segment_fixed_size: 0
    .kernarg_segment_align: 8
    .kernarg_segment_size: 280
    .language:       OpenCL C
    .language_version:
      - 2
      - 0
    .max_flat_workgroup_size: 256
    .name:           _ZN7rocprim17ROCPRIM_304000_NS6detail31init_lookback_scan_state_kernelINS1_19lookback_scan_stateIN3c104HalfELb0ELb1EEEEEvT_jjPNS7_10value_typeE
    .private_segment_fixed_size: 0
    .sgpr_count:     16
    .sgpr_spill_count: 0
    .symbol:         _ZN7rocprim17ROCPRIM_304000_NS6detail31init_lookback_scan_state_kernelINS1_19lookback_scan_stateIN3c104HalfELb0ELb1EEEEEvT_jjPNS7_10value_typeE.kd
    .uniform_work_group_size: 1
    .uses_dynamic_stack: false
    .vgpr_count:     6
    .vgpr_spill_count: 0
    .wavefront_size: 64
  - .agpr_count:     0
    .args:
      - .address_space:  global
        .offset:         0
        .size:           8
        .value_kind:     global_buffer
      - .address_space:  global
        .offset:         8
        .size:           8
        .value_kind:     global_buffer
      - .offset:         16
        .size:           8
        .value_kind:     by_value
      - .offset:         24
        .size:           2
        .value_kind:     by_value
      - .offset:         26
        .size:           1
        .value_kind:     by_value
      - .address_space:  global
        .offset:         32
        .size:           8
        .value_kind:     global_buffer
      - .offset:         40
        .size:           4
        .value_kind:     by_value
      - .address_space:  global
        .offset:         48
        .size:           8
        .value_kind:     global_buffer
      - .address_space:  global
        .offset:         56
        .size:           8
        .value_kind:     global_buffer
      - .offset:         64
        .size:           1
        .value_kind:     by_value
      - .offset:         65
        .size:           1
        .value_kind:     by_value
    .group_segment_fixed_size: 0
    .kernarg_segment_align: 8
    .kernarg_segment_size: 68
    .language:       OpenCL C
    .language_version:
      - 2
      - 0
    .max_flat_workgroup_size: 256
    .name:           _ZN7rocprim17ROCPRIM_304000_NS6detail20lookback_scan_kernelILNS1_25lookback_scan_determinismE0ELb0ENS1_19wrapped_scan_configINS0_14default_configEN3c104HalfEEEPKS7_PS7_St10multipliesIS7_ES7_S7_NS1_19lookback_scan_stateIS7_Lb1ELb1EEEEEvT2_T3_mT5_T4_T7_jPT6_SM_bb
    .private_segment_fixed_size: 0
    .sgpr_count:     6
    .sgpr_spill_count: 0
    .symbol:         _ZN7rocprim17ROCPRIM_304000_NS6detail20lookback_scan_kernelILNS1_25lookback_scan_determinismE0ELb0ENS1_19wrapped_scan_configINS0_14default_configEN3c104HalfEEEPKS7_PS7_St10multipliesIS7_ES7_S7_NS1_19lookback_scan_stateIS7_Lb1ELb1EEEEEvT2_T3_mT5_T4_T7_jPT6_SM_bb.kd
    .uniform_work_group_size: 1
    .uses_dynamic_stack: false
    .vgpr_count:     0
    .vgpr_spill_count: 0
    .wavefront_size: 64
  - .agpr_count:     0
    .args:
      - .address_space:  global
        .offset:         0
        .size:           8
        .value_kind:     global_buffer
      - .address_space:  global
        .offset:         8
        .size:           8
        .value_kind:     global_buffer
      - .offset:         16
        .size:           8
        .value_kind:     by_value
      - .offset:         24
        .size:           2
        .value_kind:     by_value
      - .offset:         26
        .size:           1
        .value_kind:     by_value
      - .address_space:  global
        .offset:         32
        .size:           8
        .value_kind:     global_buffer
      - .offset:         40
        .size:           4
        .value_kind:     by_value
      - .address_space:  global
        .offset:         48
        .size:           8
        .value_kind:     global_buffer
      - .address_space:  global
        .offset:         56
        .size:           8
        .value_kind:     global_buffer
      - .offset:         64
        .size:           1
        .value_kind:     by_value
      - .offset:         65
        .size:           1
        .value_kind:     by_value
    .group_segment_fixed_size: 12288
    .kernarg_segment_align: 8
    .kernarg_segment_size: 68
    .language:       OpenCL C
    .language_version:
      - 2
      - 0
    .max_flat_workgroup_size: 256
    .name:           _ZN7rocprim17ROCPRIM_304000_NS6detail20lookback_scan_kernelILNS1_25lookback_scan_determinismE0ELb0ENS1_19wrapped_scan_configINS0_14default_configEN3c104HalfEEEPKS7_PS7_St10multipliesIS7_ES7_S7_NS1_19lookback_scan_stateIS7_Lb0ELb1EEEEEvT2_T3_mT5_T4_T7_jPT6_SM_bb
    .private_segment_fixed_size: 0
    .sgpr_count:     36
    .sgpr_spill_count: 0
    .symbol:         _ZN7rocprim17ROCPRIM_304000_NS6detail20lookback_scan_kernelILNS1_25lookback_scan_determinismE0ELb0ENS1_19wrapped_scan_configINS0_14default_configEN3c104HalfEEEPKS7_PS7_St10multipliesIS7_ES7_S7_NS1_19lookback_scan_stateIS7_Lb0ELb1EEEEEvT2_T3_mT5_T4_T7_jPT6_SM_bb.kd
    .uniform_work_group_size: 1
    .uses_dynamic_stack: false
    .vgpr_count:     55
    .vgpr_spill_count: 0
    .wavefront_size: 64
  - .agpr_count:     0
    .args:
      - .address_space:  global
        .offset:         0
        .size:           8
        .value_kind:     global_buffer
      - .offset:         8
        .size:           8
        .value_kind:     by_value
      - .address_space:  global
        .offset:         16
        .size:           8
        .value_kind:     global_buffer
      - .offset:         24
        .size:           1
        .value_kind:     by_value
      - .offset:         32
        .size:           4
        .value_kind:     hidden_block_count_x
      - .offset:         36
        .size:           4
        .value_kind:     hidden_block_count_y
      - .offset:         40
        .size:           4
        .value_kind:     hidden_block_count_z
      - .offset:         44
        .size:           2
        .value_kind:     hidden_group_size_x
      - .offset:         46
        .size:           2
        .value_kind:     hidden_group_size_y
      - .offset:         48
        .size:           2
        .value_kind:     hidden_group_size_z
      - .offset:         50
        .size:           2
        .value_kind:     hidden_remainder_x
      - .offset:         52
        .size:           2
        .value_kind:     hidden_remainder_y
      - .offset:         54
        .size:           2
        .value_kind:     hidden_remainder_z
      - .offset:         72
        .size:           8
        .value_kind:     hidden_global_offset_x
      - .offset:         80
        .size:           8
        .value_kind:     hidden_global_offset_y
      - .offset:         88
        .size:           8
        .value_kind:     hidden_global_offset_z
      - .offset:         96
        .size:           2
        .value_kind:     hidden_grid_dims
    .group_segment_fixed_size: 0
    .kernarg_segment_align: 8
    .kernarg_segment_size: 288
    .language:       OpenCL C
    .language_version:
      - 2
      - 0
    .max_flat_workgroup_size: 256
    .name:           _ZN7rocprim17ROCPRIM_304000_NS6detail16transform_kernelINS1_24wrapped_transform_configINS0_14default_configEN3c104HalfEEES6_PS6_S8_NS0_8identityIS6_EEEEvT1_mT2_T3_
    .private_segment_fixed_size: 0
    .sgpr_count:     26
    .sgpr_spill_count: 0
    .symbol:         _ZN7rocprim17ROCPRIM_304000_NS6detail16transform_kernelINS1_24wrapped_transform_configINS0_14default_configEN3c104HalfEEES6_PS6_S8_NS0_8identityIS6_EEEEvT1_mT2_T3_.kd
    .uniform_work_group_size: 1
    .uses_dynamic_stack: false
    .vgpr_count:     14
    .vgpr_spill_count: 0
    .wavefront_size: 64
  - .agpr_count:     0
    .args:
      - .address_space:  global
        .offset:         0
        .size:           8
        .value_kind:     global_buffer
      - .offset:         8
        .size:           8
        .value_kind:     by_value
      - .offset:         16
        .size:           2
        .value_kind:     by_value
      - .address_space:  global
        .offset:         24
        .size:           8
        .value_kind:     global_buffer
      - .offset:         32
        .size:           1
        .value_kind:     by_value
    .group_segment_fixed_size: 12288
    .kernarg_segment_align: 8
    .kernarg_segment_size: 36
    .language:       OpenCL C
    .language_version:
      - 2
      - 0
    .max_flat_workgroup_size: 256
    .name:           _ZN7rocprim17ROCPRIM_304000_NS6detail18single_scan_kernelILb0ENS1_19wrapped_scan_configINS0_14default_configEN3c104HalfEEEPKS6_PS6_St10multipliesIS6_ES6_S6_EEvT1_mT4_T2_T3_
    .private_segment_fixed_size: 0
    .sgpr_count:     60
    .sgpr_spill_count: 0
    .symbol:         _ZN7rocprim17ROCPRIM_304000_NS6detail18single_scan_kernelILb0ENS1_19wrapped_scan_configINS0_14default_configEN3c104HalfEEEPKS6_PS6_St10multipliesIS6_ES6_S6_EEvT1_mT4_T2_T3_.kd
    .uniform_work_group_size: 1
    .uses_dynamic_stack: false
    .vgpr_count:     31
    .vgpr_spill_count: 0
    .wavefront_size: 64
  - .agpr_count:     0
    .args:
      - .address_space:  global
        .offset:         0
        .size:           8
        .value_kind:     global_buffer
      - .address_space:  global
        .offset:         8
        .size:           8
        .value_kind:     global_buffer
      - .offset:         16
        .size:           4
        .value_kind:     by_value
      - .offset:         20
        .size:           4
        .value_kind:     by_value
      - .offset:         24
        .size:           4
        .value_kind:     by_value
      - .offset:         28
        .size:           2
        .value_kind:     by_value
      - .offset:         30
        .size:           1
        .value_kind:     by_value
      - .offset:         32
        .size:           4
        .value_kind:     hidden_block_count_x
      - .offset:         36
        .size:           4
        .value_kind:     hidden_block_count_y
      - .offset:         40
        .size:           4
        .value_kind:     hidden_block_count_z
      - .offset:         44
        .size:           2
        .value_kind:     hidden_group_size_x
      - .offset:         46
        .size:           2
        .value_kind:     hidden_group_size_y
      - .offset:         48
        .size:           2
        .value_kind:     hidden_group_size_z
      - .offset:         50
        .size:           2
        .value_kind:     hidden_remainder_x
      - .offset:         52
        .size:           2
        .value_kind:     hidden_remainder_y
      - .offset:         54
        .size:           2
        .value_kind:     hidden_remainder_z
      - .offset:         72
        .size:           8
        .value_kind:     hidden_global_offset_x
      - .offset:         80
        .size:           8
        .value_kind:     hidden_global_offset_y
      - .offset:         88
        .size:           8
        .value_kind:     hidden_global_offset_z
      - .offset:         96
        .size:           2
        .value_kind:     hidden_grid_dims
      - .offset:         152
        .size:           4
        .value_kind:     hidden_dynamic_lds_size
    .group_segment_fixed_size: 0
    .kernarg_segment_align: 8
    .kernarg_segment_size: 288
    .language:       OpenCL C
    .language_version:
      - 2
      - 0
    .max_flat_workgroup_size: 1024
    .name:           _ZN2at6native32tensor_kernel_scan_innermost_dimIN3c104HalfESt10multipliesIS3_EEEvPT_PKS6_jjjS6_T0_
    .private_segment_fixed_size: 0
    .sgpr_count:     40
    .sgpr_spill_count: 0
    .symbol:         _ZN2at6native32tensor_kernel_scan_innermost_dimIN3c104HalfESt10multipliesIS3_EEEvPT_PKS6_jjjS6_T0_.kd
    .uniform_work_group_size: 1
    .uses_dynamic_stack: false
    .vgpr_count:     24
    .vgpr_spill_count: 0
    .wavefront_size: 64
  - .agpr_count:     0
    .args:
      - .address_space:  global
        .offset:         0
        .size:           8
        .value_kind:     global_buffer
      - .address_space:  global
        .offset:         8
        .size:           8
        .value_kind:     global_buffer
      - .offset:         16
        .size:           4
        .value_kind:     by_value
      - .offset:         20
        .size:           4
        .value_kind:     by_value
      - .offset:         24
        .size:           4
        .value_kind:     by_value
      - .offset:         28
        .size:           2
        .value_kind:     by_value
      - .offset:         30
        .size:           1
        .value_kind:     by_value
      - .offset:         32
        .size:           4
        .value_kind:     hidden_block_count_x
      - .offset:         36
        .size:           4
        .value_kind:     hidden_block_count_y
      - .offset:         40
        .size:           4
        .value_kind:     hidden_block_count_z
      - .offset:         44
        .size:           2
        .value_kind:     hidden_group_size_x
      - .offset:         46
        .size:           2
        .value_kind:     hidden_group_size_y
      - .offset:         48
        .size:           2
        .value_kind:     hidden_group_size_z
      - .offset:         50
        .size:           2
        .value_kind:     hidden_remainder_x
      - .offset:         52
        .size:           2
        .value_kind:     hidden_remainder_y
      - .offset:         54
        .size:           2
        .value_kind:     hidden_remainder_z
      - .offset:         72
        .size:           8
        .value_kind:     hidden_global_offset_x
      - .offset:         80
        .size:           8
        .value_kind:     hidden_global_offset_y
      - .offset:         88
        .size:           8
        .value_kind:     hidden_global_offset_z
      - .offset:         96
        .size:           2
        .value_kind:     hidden_grid_dims
    .group_segment_fixed_size: 0
    .kernarg_segment_align: 8
    .kernarg_segment_size: 288
    .language:       OpenCL C
    .language_version:
      - 2
      - 0
    .max_flat_workgroup_size: 1024
    .name:           _ZN2at6native28tensor_kernel_scan_outer_dimIN3c104HalfEjSt10multipliesIS3_EEEvPT_PKS6_jjjS6_T1_
    .private_segment_fixed_size: 0
    .sgpr_count:     36
    .sgpr_spill_count: 0
    .symbol:         _ZN2at6native28tensor_kernel_scan_outer_dimIN3c104HalfEjSt10multipliesIS3_EEEvPT_PKS6_jjjS6_T1_.kd
    .uniform_work_group_size: 1
    .uses_dynamic_stack: false
    .vgpr_count:     9
    .vgpr_spill_count: 0
    .wavefront_size: 64
  - .agpr_count:     0
    .args:
      - .address_space:  global
        .offset:         0
        .size:           8
        .value_kind:     global_buffer
      - .address_space:  global
        .offset:         8
        .size:           8
        .value_kind:     global_buffer
      - .offset:         16
        .size:           4
        .value_kind:     by_value
      - .offset:         20
        .size:           4
        .value_kind:     by_value
      - .offset:         24
        .size:           4
        .value_kind:     by_value
      - .offset:         28
        .size:           2
        .value_kind:     by_value
      - .offset:         30
        .size:           1
        .value_kind:     by_value
      - .offset:         32
        .size:           4
        .value_kind:     hidden_block_count_x
      - .offset:         36
        .size:           4
        .value_kind:     hidden_block_count_y
      - .offset:         40
        .size:           4
        .value_kind:     hidden_block_count_z
      - .offset:         44
        .size:           2
        .value_kind:     hidden_group_size_x
      - .offset:         46
        .size:           2
        .value_kind:     hidden_group_size_y
      - .offset:         48
        .size:           2
        .value_kind:     hidden_group_size_z
      - .offset:         50
        .size:           2
        .value_kind:     hidden_remainder_x
      - .offset:         52
        .size:           2
        .value_kind:     hidden_remainder_y
      - .offset:         54
        .size:           2
        .value_kind:     hidden_remainder_z
      - .offset:         72
        .size:           8
        .value_kind:     hidden_global_offset_x
      - .offset:         80
        .size:           8
        .value_kind:     hidden_global_offset_y
      - .offset:         88
        .size:           8
        .value_kind:     hidden_global_offset_z
      - .offset:         96
        .size:           2
        .value_kind:     hidden_grid_dims
    .group_segment_fixed_size: 0
    .kernarg_segment_align: 8
    .kernarg_segment_size: 288
    .language:       OpenCL C
    .language_version:
      - 2
      - 0
    .max_flat_workgroup_size: 1024
    .name:           _ZN2at6native28tensor_kernel_scan_outer_dimIN3c104HalfEmSt10multipliesIS3_EEEvPT_PKS6_jjjS6_T1_
    .private_segment_fixed_size: 0
    .sgpr_count:     35
    .sgpr_spill_count: 0
    .symbol:         _ZN2at6native28tensor_kernel_scan_outer_dimIN3c104HalfEmSt10multipliesIS3_EEEvPT_PKS6_jjjS6_T1_.kd
    .uniform_work_group_size: 1
    .uses_dynamic_stack: false
    .vgpr_count:     9
    .vgpr_spill_count: 0
    .wavefront_size: 64
  - .agpr_count:     0
    .args:
      - .address_space:  global
        .offset:         0
        .size:           8
        .value_kind:     global_buffer
      - .offset:         8
        .size:           4
        .value_kind:     by_value
      - .offset:         12
        .size:           4
        .value_kind:     by_value
      - .address_space:  global
        .offset:         16
        .size:           8
        .value_kind:     global_buffer
      - .offset:         24
        .size:           4
        .value_kind:     hidden_block_count_x
      - .offset:         28
        .size:           4
        .value_kind:     hidden_block_count_y
      - .offset:         32
        .size:           4
        .value_kind:     hidden_block_count_z
      - .offset:         36
        .size:           2
        .value_kind:     hidden_group_size_x
      - .offset:         38
        .size:           2
        .value_kind:     hidden_group_size_y
      - .offset:         40
        .size:           2
        .value_kind:     hidden_group_size_z
      - .offset:         42
        .size:           2
        .value_kind:     hidden_remainder_x
      - .offset:         44
        .size:           2
        .value_kind:     hidden_remainder_y
      - .offset:         46
        .size:           2
        .value_kind:     hidden_remainder_z
      - .offset:         64
        .size:           8
        .value_kind:     hidden_global_offset_x
      - .offset:         72
        .size:           8
        .value_kind:     hidden_global_offset_y
      - .offset:         80
        .size:           8
        .value_kind:     hidden_global_offset_z
      - .offset:         88
        .size:           2
        .value_kind:     hidden_grid_dims
    .group_segment_fixed_size: 0
    .kernarg_segment_align: 8
    .kernarg_segment_size: 280
    .language:       OpenCL C
    .language_version:
      - 2
      - 0
    .max_flat_workgroup_size: 256
    .name:           _ZN7rocprim17ROCPRIM_304000_NS6detail31init_lookback_scan_state_kernelINS1_19lookback_scan_stateIN3c108BFloat16ELb1ELb1EEEEEvT_jjPNS7_10value_typeE
    .private_segment_fixed_size: 0
    .sgpr_count:     18
    .sgpr_spill_count: 0
    .symbol:         _ZN7rocprim17ROCPRIM_304000_NS6detail31init_lookback_scan_state_kernelINS1_19lookback_scan_stateIN3c108BFloat16ELb1ELb1EEEEEvT_jjPNS7_10value_typeE.kd
    .uniform_work_group_size: 1
    .uses_dynamic_stack: false
    .vgpr_count:     6
    .vgpr_spill_count: 0
    .wavefront_size: 64
  - .agpr_count:     0
    .args:
      - .address_space:  global
        .offset:         0
        .size:           8
        .value_kind:     global_buffer
      - .offset:         8
        .size:           4
        .value_kind:     by_value
      - .offset:         12
        .size:           4
        .value_kind:     by_value
      - .address_space:  global
        .offset:         16
        .size:           8
        .value_kind:     global_buffer
      - .offset:         24
        .size:           4
        .value_kind:     hidden_block_count_x
      - .offset:         28
        .size:           4
        .value_kind:     hidden_block_count_y
      - .offset:         32
        .size:           4
        .value_kind:     hidden_block_count_z
      - .offset:         36
        .size:           2
        .value_kind:     hidden_group_size_x
      - .offset:         38
        .size:           2
        .value_kind:     hidden_group_size_y
      - .offset:         40
        .size:           2
        .value_kind:     hidden_group_size_z
      - .offset:         42
        .size:           2
        .value_kind:     hidden_remainder_x
      - .offset:         44
        .size:           2
        .value_kind:     hidden_remainder_y
      - .offset:         46
        .size:           2
        .value_kind:     hidden_remainder_z
      - .offset:         64
        .size:           8
        .value_kind:     hidden_global_offset_x
      - .offset:         72
        .size:           8
        .value_kind:     hidden_global_offset_y
      - .offset:         80
        .size:           8
        .value_kind:     hidden_global_offset_z
      - .offset:         88
        .size:           2
        .value_kind:     hidden_grid_dims
    .group_segment_fixed_size: 0
    .kernarg_segment_align: 8
    .kernarg_segment_size: 280
    .language:       OpenCL C
    .language_version:
      - 2
      - 0
    .max_flat_workgroup_size: 256
    .name:           _ZN7rocprim17ROCPRIM_304000_NS6detail31init_lookback_scan_state_kernelINS1_19lookback_scan_stateIN3c108BFloat16ELb0ELb1EEEEEvT_jjPNS7_10value_typeE
    .private_segment_fixed_size: 0
    .sgpr_count:     16
    .sgpr_spill_count: 0
    .symbol:         _ZN7rocprim17ROCPRIM_304000_NS6detail31init_lookback_scan_state_kernelINS1_19lookback_scan_stateIN3c108BFloat16ELb0ELb1EEEEEvT_jjPNS7_10value_typeE.kd
    .uniform_work_group_size: 1
    .uses_dynamic_stack: false
    .vgpr_count:     6
    .vgpr_spill_count: 0
    .wavefront_size: 64
  - .agpr_count:     0
    .args:
      - .address_space:  global
        .offset:         0
        .size:           8
        .value_kind:     global_buffer
      - .address_space:  global
        .offset:         8
        .size:           8
        .value_kind:     global_buffer
      - .offset:         16
        .size:           8
        .value_kind:     by_value
      - .offset:         24
        .size:           2
        .value_kind:     by_value
      - .offset:         26
        .size:           1
        .value_kind:     by_value
      - .address_space:  global
        .offset:         32
        .size:           8
        .value_kind:     global_buffer
      - .offset:         40
        .size:           4
        .value_kind:     by_value
      - .address_space:  global
        .offset:         48
        .size:           8
        .value_kind:     global_buffer
      - .address_space:  global
        .offset:         56
        .size:           8
        .value_kind:     global_buffer
      - .offset:         64
        .size:           1
        .value_kind:     by_value
      - .offset:         65
        .size:           1
        .value_kind:     by_value
    .group_segment_fixed_size: 0
    .kernarg_segment_align: 8
    .kernarg_segment_size: 68
    .language:       OpenCL C
    .language_version:
      - 2
      - 0
    .max_flat_workgroup_size: 256
    .name:           _ZN7rocprim17ROCPRIM_304000_NS6detail20lookback_scan_kernelILNS1_25lookback_scan_determinismE0ELb0ENS1_19wrapped_scan_configINS0_14default_configEN3c108BFloat16EEEPKS7_PS7_St10multipliesIS7_ES7_S7_NS1_19lookback_scan_stateIS7_Lb1ELb1EEEEEvT2_T3_mT5_T4_T7_jPT6_SM_bb
    .private_segment_fixed_size: 0
    .sgpr_count:     6
    .sgpr_spill_count: 0
    .symbol:         _ZN7rocprim17ROCPRIM_304000_NS6detail20lookback_scan_kernelILNS1_25lookback_scan_determinismE0ELb0ENS1_19wrapped_scan_configINS0_14default_configEN3c108BFloat16EEEPKS7_PS7_St10multipliesIS7_ES7_S7_NS1_19lookback_scan_stateIS7_Lb1ELb1EEEEEvT2_T3_mT5_T4_T7_jPT6_SM_bb.kd
    .uniform_work_group_size: 1
    .uses_dynamic_stack: false
    .vgpr_count:     0
    .vgpr_spill_count: 0
    .wavefront_size: 64
  - .agpr_count:     0
    .args:
      - .address_space:  global
        .offset:         0
        .size:           8
        .value_kind:     global_buffer
      - .address_space:  global
        .offset:         8
        .size:           8
        .value_kind:     global_buffer
      - .offset:         16
        .size:           8
        .value_kind:     by_value
      - .offset:         24
        .size:           2
        .value_kind:     by_value
      - .offset:         26
        .size:           1
        .value_kind:     by_value
      - .address_space:  global
        .offset:         32
        .size:           8
        .value_kind:     global_buffer
      - .offset:         40
        .size:           4
        .value_kind:     by_value
      - .address_space:  global
        .offset:         48
        .size:           8
        .value_kind:     global_buffer
      - .address_space:  global
        .offset:         56
        .size:           8
        .value_kind:     global_buffer
      - .offset:         64
        .size:           1
        .value_kind:     by_value
      - .offset:         65
        .size:           1
        .value_kind:     by_value
    .group_segment_fixed_size: 12288
    .kernarg_segment_align: 8
    .kernarg_segment_size: 68
    .language:       OpenCL C
    .language_version:
      - 2
      - 0
    .max_flat_workgroup_size: 256
    .name:           _ZN7rocprim17ROCPRIM_304000_NS6detail20lookback_scan_kernelILNS1_25lookback_scan_determinismE0ELb0ENS1_19wrapped_scan_configINS0_14default_configEN3c108BFloat16EEEPKS7_PS7_St10multipliesIS7_ES7_S7_NS1_19lookback_scan_stateIS7_Lb0ELb1EEEEEvT2_T3_mT5_T4_T7_jPT6_SM_bb
    .private_segment_fixed_size: 0
    .sgpr_count:     32
    .sgpr_spill_count: 0
    .symbol:         _ZN7rocprim17ROCPRIM_304000_NS6detail20lookback_scan_kernelILNS1_25lookback_scan_determinismE0ELb0ENS1_19wrapped_scan_configINS0_14default_configEN3c108BFloat16EEEPKS7_PS7_St10multipliesIS7_ES7_S7_NS1_19lookback_scan_stateIS7_Lb0ELb1EEEEEvT2_T3_mT5_T4_T7_jPT6_SM_bb.kd
    .uniform_work_group_size: 1
    .uses_dynamic_stack: false
    .vgpr_count:     69
    .vgpr_spill_count: 0
    .wavefront_size: 64
  - .agpr_count:     0
    .args:
      - .address_space:  global
        .offset:         0
        .size:           8
        .value_kind:     global_buffer
      - .offset:         8
        .size:           8
        .value_kind:     by_value
      - .address_space:  global
        .offset:         16
        .size:           8
        .value_kind:     global_buffer
      - .offset:         24
        .size:           1
        .value_kind:     by_value
      - .offset:         32
        .size:           4
        .value_kind:     hidden_block_count_x
      - .offset:         36
        .size:           4
        .value_kind:     hidden_block_count_y
      - .offset:         40
        .size:           4
        .value_kind:     hidden_block_count_z
      - .offset:         44
        .size:           2
        .value_kind:     hidden_group_size_x
      - .offset:         46
        .size:           2
        .value_kind:     hidden_group_size_y
      - .offset:         48
        .size:           2
        .value_kind:     hidden_group_size_z
      - .offset:         50
        .size:           2
        .value_kind:     hidden_remainder_x
      - .offset:         52
        .size:           2
        .value_kind:     hidden_remainder_y
      - .offset:         54
        .size:           2
        .value_kind:     hidden_remainder_z
      - .offset:         72
        .size:           8
        .value_kind:     hidden_global_offset_x
      - .offset:         80
        .size:           8
        .value_kind:     hidden_global_offset_y
      - .offset:         88
        .size:           8
        .value_kind:     hidden_global_offset_z
      - .offset:         96
        .size:           2
        .value_kind:     hidden_grid_dims
    .group_segment_fixed_size: 0
    .kernarg_segment_align: 8
    .kernarg_segment_size: 288
    .language:       OpenCL C
    .language_version:
      - 2
      - 0
    .max_flat_workgroup_size: 256
    .name:           _ZN7rocprim17ROCPRIM_304000_NS6detail16transform_kernelINS1_24wrapped_transform_configINS0_14default_configEN3c108BFloat16EEES6_PS6_S8_NS0_8identityIS6_EEEEvT1_mT2_T3_
    .private_segment_fixed_size: 0
    .sgpr_count:     26
    .sgpr_spill_count: 0
    .symbol:         _ZN7rocprim17ROCPRIM_304000_NS6detail16transform_kernelINS1_24wrapped_transform_configINS0_14default_configEN3c108BFloat16EEES6_PS6_S8_NS0_8identityIS6_EEEEvT1_mT2_T3_.kd
    .uniform_work_group_size: 1
    .uses_dynamic_stack: false
    .vgpr_count:     14
    .vgpr_spill_count: 0
    .wavefront_size: 64
  - .agpr_count:     0
    .args:
      - .address_space:  global
        .offset:         0
        .size:           8
        .value_kind:     global_buffer
      - .offset:         8
        .size:           8
        .value_kind:     by_value
      - .offset:         16
        .size:           2
        .value_kind:     by_value
      - .address_space:  global
        .offset:         24
        .size:           8
        .value_kind:     global_buffer
      - .offset:         32
        .size:           1
        .value_kind:     by_value
    .group_segment_fixed_size: 12288
    .kernarg_segment_align: 8
    .kernarg_segment_size: 36
    .language:       OpenCL C
    .language_version:
      - 2
      - 0
    .max_flat_workgroup_size: 256
    .name:           _ZN7rocprim17ROCPRIM_304000_NS6detail18single_scan_kernelILb0ENS1_19wrapped_scan_configINS0_14default_configEN3c108BFloat16EEEPKS6_PS6_St10multipliesIS6_ES6_S6_EEvT1_mT4_T2_T3_
    .private_segment_fixed_size: 0
    .sgpr_count:     62
    .sgpr_spill_count: 0
    .symbol:         _ZN7rocprim17ROCPRIM_304000_NS6detail18single_scan_kernelILb0ENS1_19wrapped_scan_configINS0_14default_configEN3c108BFloat16EEEPKS6_PS6_St10multipliesIS6_ES6_S6_EEvT1_mT4_T2_T3_.kd
    .uniform_work_group_size: 1
    .uses_dynamic_stack: false
    .vgpr_count:     36
    .vgpr_spill_count: 0
    .wavefront_size: 64
  - .agpr_count:     0
    .args:
      - .address_space:  global
        .offset:         0
        .size:           8
        .value_kind:     global_buffer
      - .address_space:  global
        .offset:         8
        .size:           8
        .value_kind:     global_buffer
      - .offset:         16
        .size:           4
        .value_kind:     by_value
      - .offset:         20
        .size:           4
        .value_kind:     by_value
      - .offset:         24
        .size:           4
        .value_kind:     by_value
      - .offset:         28
        .size:           2
        .value_kind:     by_value
      - .offset:         30
        .size:           1
        .value_kind:     by_value
      - .offset:         32
        .size:           4
        .value_kind:     hidden_block_count_x
      - .offset:         36
        .size:           4
        .value_kind:     hidden_block_count_y
      - .offset:         40
        .size:           4
        .value_kind:     hidden_block_count_z
      - .offset:         44
        .size:           2
        .value_kind:     hidden_group_size_x
      - .offset:         46
        .size:           2
        .value_kind:     hidden_group_size_y
      - .offset:         48
        .size:           2
        .value_kind:     hidden_group_size_z
      - .offset:         50
        .size:           2
        .value_kind:     hidden_remainder_x
      - .offset:         52
        .size:           2
        .value_kind:     hidden_remainder_y
      - .offset:         54
        .size:           2
        .value_kind:     hidden_remainder_z
      - .offset:         72
        .size:           8
        .value_kind:     hidden_global_offset_x
      - .offset:         80
        .size:           8
        .value_kind:     hidden_global_offset_y
      - .offset:         88
        .size:           8
        .value_kind:     hidden_global_offset_z
      - .offset:         96
        .size:           2
        .value_kind:     hidden_grid_dims
      - .offset:         152
        .size:           4
        .value_kind:     hidden_dynamic_lds_size
    .group_segment_fixed_size: 0
    .kernarg_segment_align: 8
    .kernarg_segment_size: 288
    .language:       OpenCL C
    .language_version:
      - 2
      - 0
    .max_flat_workgroup_size: 1024
    .name:           _ZN2at6native32tensor_kernel_scan_innermost_dimIN3c108BFloat16ESt10multipliesIS3_EEEvPT_PKS6_jjjS6_T0_
    .private_segment_fixed_size: 0
    .sgpr_count:     41
    .sgpr_spill_count: 0
    .symbol:         _ZN2at6native32tensor_kernel_scan_innermost_dimIN3c108BFloat16ESt10multipliesIS3_EEEvPT_PKS6_jjjS6_T0_.kd
    .uniform_work_group_size: 1
    .uses_dynamic_stack: false
    .vgpr_count:     27
    .vgpr_spill_count: 0
    .wavefront_size: 64
  - .agpr_count:     0
    .args:
      - .address_space:  global
        .offset:         0
        .size:           8
        .value_kind:     global_buffer
      - .address_space:  global
        .offset:         8
        .size:           8
        .value_kind:     global_buffer
      - .offset:         16
        .size:           4
        .value_kind:     by_value
      - .offset:         20
        .size:           4
        .value_kind:     by_value
      - .offset:         24
        .size:           4
        .value_kind:     by_value
      - .offset:         28
        .size:           2
        .value_kind:     by_value
      - .offset:         30
        .size:           1
        .value_kind:     by_value
      - .offset:         32
        .size:           4
        .value_kind:     hidden_block_count_x
      - .offset:         36
        .size:           4
        .value_kind:     hidden_block_count_y
      - .offset:         40
        .size:           4
        .value_kind:     hidden_block_count_z
      - .offset:         44
        .size:           2
        .value_kind:     hidden_group_size_x
      - .offset:         46
        .size:           2
        .value_kind:     hidden_group_size_y
      - .offset:         48
        .size:           2
        .value_kind:     hidden_group_size_z
      - .offset:         50
        .size:           2
        .value_kind:     hidden_remainder_x
      - .offset:         52
        .size:           2
        .value_kind:     hidden_remainder_y
      - .offset:         54
        .size:           2
        .value_kind:     hidden_remainder_z
      - .offset:         72
        .size:           8
        .value_kind:     hidden_global_offset_x
      - .offset:         80
        .size:           8
        .value_kind:     hidden_global_offset_y
      - .offset:         88
        .size:           8
        .value_kind:     hidden_global_offset_z
      - .offset:         96
        .size:           2
        .value_kind:     hidden_grid_dims
    .group_segment_fixed_size: 0
    .kernarg_segment_align: 8
    .kernarg_segment_size: 288
    .language:       OpenCL C
    .language_version:
      - 2
      - 0
    .max_flat_workgroup_size: 1024
    .name:           _ZN2at6native28tensor_kernel_scan_outer_dimIN3c108BFloat16EjSt10multipliesIS3_EEEvPT_PKS6_jjjS6_T1_
    .private_segment_fixed_size: 0
    .sgpr_count:     37
    .sgpr_spill_count: 0
    .symbol:         _ZN2at6native28tensor_kernel_scan_outer_dimIN3c108BFloat16EjSt10multipliesIS3_EEEvPT_PKS6_jjjS6_T1_.kd
    .uniform_work_group_size: 1
    .uses_dynamic_stack: false
    .vgpr_count:     10
    .vgpr_spill_count: 0
    .wavefront_size: 64
  - .agpr_count:     0
    .args:
      - .address_space:  global
        .offset:         0
        .size:           8
        .value_kind:     global_buffer
      - .address_space:  global
        .offset:         8
        .size:           8
        .value_kind:     global_buffer
      - .offset:         16
        .size:           4
        .value_kind:     by_value
      - .offset:         20
        .size:           4
        .value_kind:     by_value
      - .offset:         24
        .size:           4
        .value_kind:     by_value
      - .offset:         28
        .size:           2
        .value_kind:     by_value
      - .offset:         30
        .size:           1
        .value_kind:     by_value
      - .offset:         32
        .size:           4
        .value_kind:     hidden_block_count_x
      - .offset:         36
        .size:           4
        .value_kind:     hidden_block_count_y
      - .offset:         40
        .size:           4
        .value_kind:     hidden_block_count_z
      - .offset:         44
        .size:           2
        .value_kind:     hidden_group_size_x
      - .offset:         46
        .size:           2
        .value_kind:     hidden_group_size_y
      - .offset:         48
        .size:           2
        .value_kind:     hidden_group_size_z
      - .offset:         50
        .size:           2
        .value_kind:     hidden_remainder_x
      - .offset:         52
        .size:           2
        .value_kind:     hidden_remainder_y
      - .offset:         54
        .size:           2
        .value_kind:     hidden_remainder_z
      - .offset:         72
        .size:           8
        .value_kind:     hidden_global_offset_x
      - .offset:         80
        .size:           8
        .value_kind:     hidden_global_offset_y
      - .offset:         88
        .size:           8
        .value_kind:     hidden_global_offset_z
      - .offset:         96
        .size:           2
        .value_kind:     hidden_grid_dims
    .group_segment_fixed_size: 0
    .kernarg_segment_align: 8
    .kernarg_segment_size: 288
    .language:       OpenCL C
    .language_version:
      - 2
      - 0
    .max_flat_workgroup_size: 1024
    .name:           _ZN2at6native28tensor_kernel_scan_outer_dimIN3c108BFloat16EmSt10multipliesIS3_EEEvPT_PKS6_jjjS6_T1_
    .private_segment_fixed_size: 0
    .sgpr_count:     36
    .sgpr_spill_count: 0
    .symbol:         _ZN2at6native28tensor_kernel_scan_outer_dimIN3c108BFloat16EmSt10multipliesIS3_EEEvPT_PKS6_jjjS6_T1_.kd
    .uniform_work_group_size: 1
    .uses_dynamic_stack: false
    .vgpr_count:     10
    .vgpr_spill_count: 0
    .wavefront_size: 64
amdhsa.target:   amdgcn-amd-amdhsa--gfx942
amdhsa.version:
  - 1
  - 2
...

	.end_amdgpu_metadata
